;; amdgpu-corpus repo=ROCm/rocFFT kind=compiled arch=gfx1030 opt=O3
	.text
	.amdgcn_target "amdgcn-amd-amdhsa--gfx1030"
	.amdhsa_code_object_version 6
	.protected	bluestein_single_fwd_len165_dim1_dp_op_CI_CI ; -- Begin function bluestein_single_fwd_len165_dim1_dp_op_CI_CI
	.globl	bluestein_single_fwd_len165_dim1_dp_op_CI_CI
	.p2align	8
	.type	bluestein_single_fwd_len165_dim1_dp_op_CI_CI,@function
bluestein_single_fwd_len165_dim1_dp_op_CI_CI: ; @bluestein_single_fwd_len165_dim1_dp_op_CI_CI
; %bb.0:
	s_load_dwordx4 s[8:11], s[4:5], 0x28
	v_mul_u32_u24_e32 v1, 0x1746, v0
	s_mov_b64 s[42:43], s[2:3]
	s_mov_b64 s[40:41], s[0:1]
	s_mov_b32 s0, exec_lo
	s_add_u32 s40, s40, s7
	v_lshrrev_b32_e32 v1, 16, v1
	s_addc_u32 s41, s41, 0
	v_mad_u64_u32 v[208:209], null, s6, 5, v[1:2]
	v_mov_b32_e32 v209, 0
	s_waitcnt lgkmcnt(0)
	v_cmpx_gt_u64_e64 s[8:9], v[208:209]
	s_cbranch_execz .LBB0_15
; %bb.1:
	s_load_dwordx4 s[0:3], s[4:5], 0x18
	v_mul_lo_u16 v1, v1, 11
	v_sub_nc_u16 v4, v0, v1
	v_and_b32_e32 v24, 0xffff, v4
	v_lshlrev_b32_e32 v5, 4, v24
	s_waitcnt lgkmcnt(0)
	s_load_dwordx4 s[12:15], s[0:1], 0x0
	s_load_dwordx2 s[0:1], s[4:5], 0x0
	s_waitcnt lgkmcnt(0)
	s_clause 0x1
	global_load_dwordx4 v[144:147], v5, s[0:1]
	global_load_dwordx4 v[136:139], v5, s[0:1] offset:240
	v_mad_u64_u32 v[12:13], null, s14, v208, 0
	v_mad_u64_u32 v[14:15], null, s12, v24, 0
	v_add_co_u32 v204, s6, s0, v5
	s_mul_i32 s7, s13, 15
	s_mul_hi_u32 s8, s12, 15
	v_mov_b32_e32 v0, v13
	v_add_co_ci_u32_e64 v205, null, s1, 0, s6
	v_mov_b32_e32 v1, v15
	s_mul_i32 s6, s12, 15
	s_add_i32 s7, s8, s7
	v_mad_u64_u32 v[2:3], null, s15, v208, v[0:1]
	s_lshl_b64 s[14:15], s[6:7], 4
	v_mov_b32_e32 v13, v2
	v_mad_u64_u32 v[15:16], null, s13, v24, v[1:2]
	s_clause 0x3
	global_load_dwordx4 v[140:143], v5, s[0:1] offset:480
	global_load_dwordx4 v[6:9], v5, s[0:1] offset:720
	;; [unrolled: 1-line block ×4, first 2 shown]
	v_lshlrev_b64 v[12:13], 4, v[12:13]
	v_lshlrev_b64 v[14:15], 4, v[14:15]
	v_add_co_u32 v46, vcc_lo, s10, v12
	v_add_co_ci_u32_e32 v47, vcc_lo, s11, v13, vcc_lo
	s_clause 0x1
	global_load_dwordx4 v[10:13], v5, s[0:1] offset:1440
	global_load_dwordx4 v[25:28], v5, s[0:1] offset:1680
	v_add_co_u32 v36, vcc_lo, v46, v14
	v_add_co_ci_u32_e32 v37, vcc_lo, v47, v15, vcc_lo
	global_load_dwordx4 v[29:32], v5, s[0:1] offset:1920
	v_add_co_u32 v38, vcc_lo, v36, s14
	v_add_co_ci_u32_e32 v39, vcc_lo, s15, v37, vcc_lo
	s_clause 0x1
	global_load_dwordx4 v[48:51], v[36:37], off
	global_load_dwordx4 v[52:55], v[38:39], off
	v_add_co_u32 v40, vcc_lo, v38, s14
	v_add_co_ci_u32_e32 v41, vcc_lo, s15, v39, vcc_lo
	v_add_co_u32 v42, vcc_lo, v40, s14
	v_add_co_ci_u32_e32 v43, vcc_lo, s15, v41, vcc_lo
	;; [unrolled: 2-line block ×4, first 2 shown]
	s_clause 0x1
	global_load_dwordx4 v[56:59], v[40:41], off
	global_load_dwordx4 v[60:63], v[42:43], off
	v_add_co_u32 v36, vcc_lo, v44, s14
	v_add_co_ci_u32_e32 v37, vcc_lo, s15, v45, vcc_lo
	global_load_dwordx4 v[64:67], v[44:45], off
	v_add_co_u32 v38, vcc_lo, v36, s14
	v_add_co_ci_u32_e32 v39, vcc_lo, s15, v37, vcc_lo
	;; [unrolled: 3-line block ×5, first 2 shown]
	global_load_dwordx4 v[80:83], v[36:37], off
	global_load_dwordx4 v[84:87], v[38:39], off
	global_load_dwordx4 v[33:36], v[0:1], off offset:112
	buffer_store_dword v0, off, s[40:43], 0 offset:4 ; 4-byte Folded Spill
	buffer_store_dword v1, off, s[40:43], 0 offset:8 ; 4-byte Folded Spill
	v_add_co_u32 v44, vcc_lo, v38, s14
	v_add_co_ci_u32_e32 v45, vcc_lo, s15, v39, vcc_lo
	v_cmp_gt_u16_e32 vcc_lo, 4, v4
	global_load_dwordx4 v[37:40], v[0:1], off offset:352
	global_load_dwordx4 v[88:91], v[44:45], off
	s_waitcnt vmcnt(12)
	v_mul_f64 v[92:93], v[50:51], v[146:147]
	s_waitcnt vmcnt(11)
	v_mul_f64 v[96:97], v[54:55], v[138:139]
	;; [unrolled: 2-line block ×10, first 2 shown]
	v_mul_f64 v[94:95], v[48:49], v[146:147]
	v_mul_f64 v[98:99], v[52:53], v[138:139]
	;; [unrolled: 1-line block ×10, first 2 shown]
	v_mul_hi_u32 v0, 0xcccccccd, v208
	v_fma_f64 v[48:49], v[48:49], v[144:145], v[92:93]
	buffer_store_dword v144, off, s[40:43], 0 offset:180 ; 4-byte Folded Spill
	buffer_store_dword v145, off, s[40:43], 0 offset:184 ; 4-byte Folded Spill
	buffer_store_dword v146, off, s[40:43], 0 offset:188 ; 4-byte Folded Spill
	buffer_store_dword v147, off, s[40:43], 0 offset:192 ; 4-byte Folded Spill
	v_fma_f64 v[52:53], v[52:53], v[136:137], v[96:97]
	buffer_store_dword v136, off, s[40:43], 0 offset:148 ; 4-byte Folded Spill
	buffer_store_dword v137, off, s[40:43], 0 offset:152 ; 4-byte Folded Spill
	buffer_store_dword v138, off, s[40:43], 0 offset:156 ; 4-byte Folded Spill
	buffer_store_dword v139, off, s[40:43], 0 offset:160 ; 4-byte Folded Spill
	;; [unrolled: 5-line block ×10, first 2 shown]
	v_lshrrev_b32_e32 v0, 2, v0
	v_lshl_add_u32 v0, v0, 2, v0
	v_sub_nc_u32_e32 v0, v208, v0
	v_mul_u32_u24_e32 v0, 0xa5, v0
	v_lshlrev_b32_e32 v2, 4, v0
	v_or_b32_e32 v0, 56, v24
	v_add_nc_u32_e32 v221, v5, v2
	s_waitcnt vmcnt(0)
	v_mul_f64 v[132:133], v[90:91], v[39:40]
	v_mul_f64 v[134:135], v[88:89], v[39:40]
	v_fma_f64 v[50:51], v[50:51], v[144:145], -v[94:95]
	v_fma_f64 v[88:89], v[88:89], v[37:38], v[132:133]
	buffer_store_dword v37, off, s[40:43], 0 offset:212 ; 4-byte Folded Spill
	buffer_store_dword v38, off, s[40:43], 0 offset:216 ; 4-byte Folded Spill
	;; [unrolled: 1-line block ×4, first 2 shown]
	v_fma_f64 v[54:55], v[54:55], v[136:137], -v[98:99]
	v_fma_f64 v[58:59], v[58:59], v[140:141], -v[102:103]
	s_load_dwordx2 s[6:7], s[4:5], 0x38
	s_load_dwordx4 s[8:11], s[2:3], 0x0
	v_fma_f64 v[62:63], v[62:63], v[6:7], -v[106:107]
	v_fma_f64 v[66:67], v[66:67], v[16:17], -v[110:111]
	;; [unrolled: 1-line block ×4, first 2 shown]
	ds_write_b128 v221, v[48:51]
	ds_write_b128 v221, v[52:55] offset:240
	ds_write_b128 v221, v[56:59] offset:480
	;; [unrolled: 1-line block ×6, first 2 shown]
	v_fma_f64 v[78:79], v[78:79], v[25:26], -v[122:123]
	v_fma_f64 v[82:83], v[82:83], v[29:30], -v[126:127]
	v_fma_f64 v[86:87], v[86:87], v[33:34], -v[130:131]
	buffer_store_dword v0, off, s[40:43], 0 offset:112 ; 4-byte Folded Spill
	buffer_store_dword v24, off, s[40:43], 0 ; 4-byte Folded Spill
	v_or_b32_e32 v0, 0x74, v24
	buffer_store_dword v0, off, s[40:43], 0 offset:228 ; 4-byte Folded Spill
	v_fma_f64 v[90:91], v[90:91], v[37:38], -v[134:135]
	ds_write_b128 v221, v[76:79] offset:1680
	ds_write_b128 v221, v[80:83] offset:1920
	;; [unrolled: 1-line block ×4, first 2 shown]
	s_and_saveexec_b32 s1, vcc_lo
	s_cbranch_execz .LBB0_3
; %bb.2:
	s_clause 0x1
	buffer_load_dword v1, off, s[40:43], 0 offset:112
	buffer_load_dword v0, off, s[40:43], 0
	v_mad_u64_u32 v[44:45], null, 0xfffff750, s12, v[44:45]
	s_mul_i32 s0, s13, 0xfffff750
	s_mul_i32 s2, s13, 0x1e0
	s_sub_i32 s0, s0, s12
	v_add_nc_u32_e32 v45, s0, v45
	v_add_co_u32 v60, s0, v44, s14
	v_add_co_ci_u32_e64 v61, s0, s15, v45, s0
	v_add_co_u32 v65, s0, v60, s14
	v_add_co_ci_u32_e64 v66, s0, s15, v61, s0
	s_waitcnt vmcnt(1)
	v_mad_u64_u32 v[56:57], null, s12, v1, 0
	s_waitcnt vmcnt(0)
	v_or_b32_e32 v0, 0x74, v0
	v_mad_u64_u32 v[72:73], null, s12, v0, 0
	v_mov_b32_e32 v48, v57
	v_mad_u64_u32 v[57:58], null, s13, v1, v[48:49]
	s_clause 0x1
	global_load_dwordx4 v[48:51], v[204:205], off offset:176
	global_load_dwordx4 v[52:55], v[204:205], off offset:416
	v_mov_b32_e32 v64, v73
	v_mad_u64_u32 v[73:74], null, s13, v0, v[64:65]
	v_lshlrev_b64 v[67:68], 4, v[56:57]
	global_load_dwordx4 v[56:59], v[44:45], off
	global_load_dwordx4 v[60:63], v[60:61], off
	v_mad_u64_u32 v[44:45], null, 0x1e0, s12, v[65:66]
	v_add_co_u32 v69, s0, v46, v67
	v_add_co_ci_u32_e64 v70, s0, v47, v68, s0
	v_add_nc_u32_e32 v45, s2, v45
	v_add_co_u32 v84, s0, v44, s14
	v_lshlrev_b64 v[86:87], 4, v[72:73]
	global_load_dwordx4 v[64:67], v[65:66], off
	v_add_co_ci_u32_e64 v85, s0, s15, v45, s0
	v_add_co_u32 v92, s0, v84, s14
	global_load_dwordx4 v[68:71], v[69:70], off
	v_add_co_ci_u32_e64 v93, s0, s15, v85, s0
	v_add_co_u32 v96, s0, v46, v86
	v_add_co_ci_u32_e64 v97, s0, v47, v87, s0
	v_mad_u64_u32 v[108:109], null, 0x1e0, s12, v[92:93]
	s_clause 0x1
	global_load_dwordx4 v[72:75], v[204:205], off offset:656
	global_load_dwordx4 v[76:79], v[204:205], off offset:896
	global_load_dwordx4 v[80:83], v[44:45], off
	global_load_dwordx4 v[44:47], v[84:85], off
	s_clause 0x1
	global_load_dwordx4 v[84:87], v[204:205], off offset:1136
	global_load_dwordx4 v[88:91], v[204:205], off offset:1376
	global_load_dwordx4 v[92:95], v[92:93], off
	global_load_dwordx4 v[96:99], v[96:97], off
	s_clause 0x1
	global_load_dwordx4 v[100:103], v[204:205], off offset:1616
	global_load_dwordx4 v[104:107], v[204:205], off offset:1856
	v_add_nc_u32_e32 v109, s2, v109
	v_add_co_u32 v116, s0, v108, s14
	v_add_co_ci_u32_e64 v117, s0, s15, v109, s0
	global_load_dwordx4 v[108:111], v[108:109], off
	s_clause 0x1
	buffer_load_dword v0, off, s[40:43], 0 offset:4
	buffer_load_dword v1, off, s[40:43], 0 offset:8
	v_add_co_u32 v128, s0, v116, s14
	v_add_co_ci_u32_e64 v129, s0, s15, v117, s0
	s_waitcnt vmcnt(0)
	global_load_dwordx4 v[112:115], v[0:1], off offset:48
	global_load_dwordx4 v[116:119], v[116:117], off
	s_clause 0x1
	global_load_dwordx4 v[120:123], v[0:1], off offset:288
	global_load_dwordx4 v[124:127], v[0:1], off offset:528
	global_load_dwordx4 v[128:131], v[128:129], off
	v_mul_f64 v[132:133], v[58:59], v[50:51]
	v_mul_f64 v[50:51], v[56:57], v[50:51]
	;; [unrolled: 1-line block ×16, first 2 shown]
	v_fma_f64 v[54:55], v[56:57], v[48:49], v[132:133]
	v_fma_f64 v[56:57], v[58:59], v[48:49], -v[50:51]
	v_fma_f64 v[48:49], v[60:61], v[52:53], v[134:135]
	v_fma_f64 v[50:51], v[62:63], v[52:53], -v[136:137]
	;; [unrolled: 2-line block ×8, first 2 shown]
	s_waitcnt vmcnt(4)
	v_mul_f64 v[150:151], v[110:111], v[114:115]
	v_mul_f64 v[114:115], v[108:109], v[114:115]
	s_waitcnt vmcnt(2)
	v_mul_f64 v[152:153], v[118:119], v[122:123]
	v_mul_f64 v[122:123], v[116:117], v[122:123]
	;; [unrolled: 3-line block ×3, first 2 shown]
	v_fma_f64 v[78:79], v[108:109], v[112:113], v[150:151]
	v_fma_f64 v[80:81], v[110:111], v[112:113], -v[114:115]
	v_fma_f64 v[82:83], v[116:117], v[120:121], v[152:153]
	v_fma_f64 v[84:85], v[118:119], v[120:121], -v[122:123]
	;; [unrolled: 2-line block ×3, first 2 shown]
	ds_write_b128 v221, v[54:57] offset:176
	ds_write_b128 v221, v[48:51] offset:416
	ds_write_b128 v221, v[58:61] offset:656
	ds_write_b128 v221, v[66:69] offset:896
	ds_write_b128 v221, v[62:65] offset:1136
	ds_write_b128 v221, v[44:47] offset:1376
	ds_write_b128 v221, v[74:77] offset:1616
	ds_write_b128 v221, v[70:73] offset:1856
	ds_write_b128 v221, v[78:81] offset:2096
	ds_write_b128 v221, v[82:85] offset:2336
	ds_write_b128 v221, v[86:89] offset:2576
.LBB0_3:
	s_or_b32 exec_lo, exec_lo, s1
	buffer_store_dword v2, off, s[40:43], 0 offset:12 ; 4-byte Folded Spill
	s_waitcnt lgkmcnt(0)
	s_waitcnt_vscnt null, 0x0
	s_barrier
	buffer_gl0_inv
	ds_read_b128 v[60:63], v221
	ds_read_b128 v[64:67], v221 offset:240
	ds_read_b128 v[68:71], v221 offset:480
	;; [unrolled: 1-line block ×10, first 2 shown]
	s_load_dwordx2 s[2:3], s[4:5], 0x8
                                        ; implicit-def: $vgpr44_vgpr45
                                        ; implicit-def: $vgpr48_vgpr49
                                        ; implicit-def: $vgpr92_vgpr93
                                        ; implicit-def: $vgpr104_vgpr105
                                        ; implicit-def: $vgpr112_vgpr113
                                        ; implicit-def: $vgpr108_vgpr109
                                        ; implicit-def: $vgpr100_vgpr101
                                        ; implicit-def: $vgpr96_vgpr97
                                        ; implicit-def: $vgpr56_vgpr57
                                        ; implicit-def: $vgpr52_vgpr53
                                        ; implicit-def: $vgpr88_vgpr89
	s_and_saveexec_b32 s0, vcc_lo
	s_cbranch_execz .LBB0_5
; %bb.4:
	ds_read_b128 v[44:47], v221 offset:176
	ds_read_b128 v[48:51], v221 offset:416
	;; [unrolled: 1-line block ×11, first 2 shown]
.LBB0_5:
	s_or_b32 exec_lo, exec_lo, s0
	s_waitcnt lgkmcnt(0)
	v_add_f64 v[132:133], v[60:61], v[64:65]
	v_add_f64 v[134:135], v[62:63], v[66:67]
	v_add_f64 v[138:139], v[130:131], -v[126:127]
	v_add_f64 v[136:137], v[128:129], -v[124:125]
	v_add_f64 v[140:141], v[128:129], v[124:125]
	v_add_f64 v[142:143], v[130:131], v[126:127]
	;; [unrolled: 1-line block ×4, first 2 shown]
	v_add_f64 v[152:153], v[116:117], -v[120:121]
	v_add_f64 v[154:155], v[118:119], -v[122:123]
	v_add_f64 v[148:149], v[80:81], v[84:85]
	v_add_f64 v[150:151], v[82:83], v[86:87]
	v_add_f64 v[156:157], v[80:81], -v[84:85]
	v_add_f64 v[158:159], v[82:83], -v[86:87]
	s_mov_b32 s24, 0xf8bb580b
	s_mov_b32 s26, 0x8eee2c13
	;; [unrolled: 1-line block ×8, first 2 shown]
	v_add_f64 v[132:133], v[132:133], v[68:69]
	v_add_f64 v[134:135], v[134:135], v[70:71]
	s_mov_b32 s21, 0xbfe82f19
	s_mov_b32 s23, 0xbfd207e7
	;; [unrolled: 1-line block ×20, first 2 shown]
	v_add_f64 v[132:133], v[132:133], v[80:81]
	v_add_f64 v[134:135], v[134:135], v[82:83]
	;; [unrolled: 1-line block ×4, first 2 shown]
	v_add_f64 v[68:69], v[68:69], -v[76:77]
	v_add_f64 v[70:71], v[70:71], -v[78:79]
	;; [unrolled: 1-line block ×8, first 2 shown]
	v_add_f64 v[132:133], v[132:133], v[116:117]
	v_add_f64 v[134:135], v[134:135], v[118:119]
	v_mul_f64 v[184:185], v[226:227], s[34:35]
	v_mul_f64 v[186:187], v[252:253], s[34:35]
	;; [unrolled: 1-line block ×11, first 2 shown]
	v_add_f64 v[132:133], v[132:133], v[128:129]
	v_add_f64 v[134:135], v[134:135], v[130:131]
	;; [unrolled: 1-line block ×10, first 2 shown]
	v_add_f64 v[84:85], v[66:67], -v[74:75]
	v_add_f64 v[86:87], v[64:65], v[72:73]
	v_add_f64 v[66:67], v[66:67], v[74:75]
	v_add_f64 v[64:65], v[64:65], -v[72:73]
	v_add_f64 v[116:117], v[76:77], v[72:73]
	v_add_f64 v[118:119], v[78:79], v[74:75]
	v_mul_f64 v[72:73], v[84:85], s[24:25]
	v_mul_f64 v[74:75], v[84:85], s[26:27]
	;; [unrolled: 1-line block ×8, first 2 shown]
	v_fma_f64 v[120:121], v[86:87], s[0:1], -v[72:73]
	v_fma_f64 v[72:73], v[86:87], s[0:1], v[72:73]
	v_fma_f64 v[122:123], v[86:87], s[16:17], -v[74:75]
	v_fma_f64 v[74:75], v[86:87], s[16:17], v[74:75]
	;; [unrolled: 2-line block ×5, first 2 shown]
	v_mul_f64 v[86:87], v[64:65], s[24:25]
	v_mul_f64 v[64:65], v[64:65], s[22:23]
	v_fma_f64 v[162:163], v[66:67], s[16:17], v[130:131]
	v_fma_f64 v[130:131], v[66:67], s[16:17], -v[130:131]
	v_fma_f64 v[164:165], v[66:67], s[14:15], v[132:133]
	v_fma_f64 v[132:133], v[66:67], s[14:15], -v[132:133]
	;; [unrolled: 2-line block ×3, first 2 shown]
	v_add_f64 v[120:121], v[60:61], v[120:121]
	v_add_f64 v[72:73], v[60:61], v[72:73]
	;; [unrolled: 1-line block ×8, first 2 shown]
	v_fma_f64 v[160:161], v[66:67], s[0:1], v[86:87]
	v_fma_f64 v[86:87], v[66:67], s[0:1], -v[86:87]
	v_fma_f64 v[168:169], v[66:67], s[12:13], v[64:65]
	v_fma_f64 v[170:171], v[66:67], s[12:13], -v[64:65]
	v_add_f64 v[66:67], v[60:61], v[128:129]
	v_add_f64 v[60:61], v[60:61], v[84:85]
	v_mul_f64 v[84:85], v[70:71], s[26:27]
	v_mul_f64 v[128:129], v[158:159], s[18:19]
	v_add_f64 v[174:175], v[62:63], v[130:131]
	v_mul_f64 v[130:131], v[156:157], s[18:19]
	v_add_f64 v[178:179], v[62:63], v[132:133]
	;; [unrolled: 2-line block ×4, first 2 shown]
	v_add_f64 v[164:165], v[62:63], v[164:165]
	v_add_f64 v[166:167], v[62:63], v[166:167]
	;; [unrolled: 1-line block ×6, first 2 shown]
	v_fma_f64 v[122:123], v[80:81], s[16:17], -v[84:85]
	v_fma_f64 v[84:85], v[80:81], s[16:17], v[84:85]
	v_fma_f64 v[126:127], v[148:149], s[14:15], -v[128:129]
	v_add_f64 v[120:121], v[122:123], v[120:121]
	v_mul_f64 v[122:123], v[68:69], s[26:27]
	v_add_f64 v[72:73], v[84:85], v[72:73]
	v_add_f64 v[120:121], v[126:127], v[120:121]
	v_fma_f64 v[124:125], v[82:83], s[16:17], v[122:123]
	v_fma_f64 v[84:85], v[82:83], s[16:17], -v[122:123]
	v_fma_f64 v[126:127], v[150:151], s[14:15], v[130:131]
	v_add_f64 v[124:125], v[124:125], v[160:161]
	v_add_f64 v[84:85], v[84:85], v[86:87]
	v_fma_f64 v[86:87], v[148:149], s[14:15], v[128:129]
	v_mul_f64 v[160:161], v[138:139], s[22:23]
	v_add_f64 v[124:125], v[126:127], v[124:125]
	v_fma_f64 v[126:127], v[144:145], s[4:5], -v[132:133]
	v_add_f64 v[72:73], v[86:87], v[72:73]
	v_fma_f64 v[86:87], v[150:151], s[14:15], -v[130:131]
	v_add_f64 v[120:121], v[126:127], v[120:121]
	v_fma_f64 v[126:127], v[146:147], s[4:5], v[134:135]
	v_add_f64 v[84:85], v[86:87], v[84:85]
	v_fma_f64 v[86:87], v[144:145], s[4:5], v[132:133]
	v_mul_f64 v[132:133], v[158:159], s[34:35]
	v_add_f64 v[126:127], v[126:127], v[124:125]
	v_fma_f64 v[124:125], v[140:141], s[12:13], -v[160:161]
	v_add_f64 v[72:73], v[86:87], v[72:73]
	v_fma_f64 v[86:87], v[146:147], s[4:5], -v[134:135]
	v_fma_f64 v[130:131], v[148:149], s[12:13], -v[132:133]
	v_mul_f64 v[134:135], v[156:157], s[34:35]
	v_add_f64 v[124:125], v[124:125], v[120:121]
	v_mul_f64 v[120:121], v[136:137], s[22:23]
	v_add_f64 v[84:85], v[86:87], v[84:85]
	v_fma_f64 v[86:87], v[140:141], s[12:13], v[160:161]
	v_mul_f64 v[160:161], v[154:155], s[30:31]
	v_fma_f64 v[168:169], v[142:143], s[12:13], v[120:121]
	v_fma_f64 v[122:123], v[142:143], s[12:13], -v[120:121]
	v_add_f64 v[120:121], v[86:87], v[72:73]
	v_mul_f64 v[72:73], v[70:71], s[20:21]
	v_mul_f64 v[86:87], v[68:69], s[20:21]
	v_add_f64 v[126:127], v[168:169], v[126:127]
	v_add_f64 v[122:123], v[122:123], v[84:85]
	v_mul_f64 v[168:169], v[138:139], s[28:29]
	v_fma_f64 v[84:85], v[80:81], s[4:5], -v[72:73]
	v_fma_f64 v[128:129], v[82:83], s[4:5], v[86:87]
	v_fma_f64 v[72:73], v[80:81], s[4:5], v[72:73]
	v_add_f64 v[84:85], v[84:85], v[172:173]
	v_add_f64 v[128:129], v[128:129], v[162:163]
	;; [unrolled: 1-line block ×3, first 2 shown]
	v_fma_f64 v[74:75], v[82:83], s[4:5], -v[86:87]
	v_fma_f64 v[86:87], v[148:149], s[12:13], v[132:133]
	v_mul_f64 v[162:163], v[152:153], s[30:31]
	v_add_f64 v[84:85], v[130:131], v[84:85]
	v_fma_f64 v[130:131], v[150:151], s[12:13], v[134:135]
	v_add_f64 v[74:75], v[74:75], v[174:175]
	v_add_f64 v[72:73], v[86:87], v[72:73]
	v_fma_f64 v[86:87], v[150:151], s[12:13], -v[134:135]
	v_add_f64 v[174:175], v[94:95], v[54:55]
	v_add_f64 v[128:129], v[130:131], v[128:129]
	v_fma_f64 v[130:131], v[144:145], s[14:15], -v[160:161]
	v_add_f64 v[74:75], v[86:87], v[74:75]
	v_fma_f64 v[86:87], v[144:145], s[14:15], v[160:161]
	v_mul_f64 v[160:161], v[158:159], s[36:37]
	v_add_f64 v[84:85], v[130:131], v[84:85]
	v_fma_f64 v[130:131], v[146:147], s[14:15], v[162:163]
	v_add_f64 v[72:73], v[86:87], v[72:73]
	v_fma_f64 v[86:87], v[146:147], s[14:15], -v[162:163]
	v_fma_f64 v[162:163], v[148:149], s[16:17], -v[160:161]
	v_add_f64 v[130:131], v[130:131], v[128:129]
	v_fma_f64 v[128:129], v[140:141], s[0:1], -v[168:169]
	v_add_f64 v[74:75], v[86:87], v[74:75]
	v_fma_f64 v[86:87], v[140:141], s[0:1], v[168:169]
	v_add_f64 v[128:129], v[128:129], v[84:85]
	v_mul_f64 v[84:85], v[136:137], s[28:29]
	v_add_f64 v[132:133], v[86:87], v[72:73]
	v_mul_f64 v[72:73], v[70:71], s[34:35]
	v_fma_f64 v[170:171], v[142:143], s[0:1], v[84:85]
	v_fma_f64 v[84:85], v[142:143], s[0:1], -v[84:85]
	v_add_f64 v[130:131], v[170:171], v[130:131]
	v_add_f64 v[134:135], v[84:85], v[74:75]
	v_fma_f64 v[74:75], v[80:81], s[12:13], -v[72:73]
	v_mul_f64 v[84:85], v[68:69], s[34:35]
	v_fma_f64 v[72:73], v[80:81], s[12:13], v[72:73]
	v_add_f64 v[74:75], v[74:75], v[176:177]
	v_fma_f64 v[86:87], v[82:83], s[12:13], v[84:85]
	v_add_f64 v[72:73], v[72:73], v[76:77]
	v_fma_f64 v[76:77], v[82:83], s[12:13], -v[84:85]
	v_fma_f64 v[84:85], v[148:149], s[16:17], v[160:161]
	v_add_f64 v[176:177], v[50:51], v[90:91]
	v_add_f64 v[74:75], v[162:163], v[74:75]
	v_mul_f64 v[162:163], v[156:157], s[36:37]
	v_add_f64 v[86:87], v[86:87], v[164:165]
	v_add_f64 v[76:77], v[76:77], v[178:179]
	;; [unrolled: 1-line block ×3, first 2 shown]
	v_mul_f64 v[178:179], v[254:255], s[30:31]
	v_fma_f64 v[164:165], v[150:151], s[16:17], v[162:163]
	v_fma_f64 v[84:85], v[150:151], s[16:17], -v[162:163]
	v_add_f64 v[86:87], v[164:165], v[86:87]
	v_mul_f64 v[164:165], v[154:155], s[24:25]
	v_add_f64 v[76:77], v[84:85], v[76:77]
	v_fma_f64 v[168:169], v[144:145], s[0:1], -v[164:165]
	v_fma_f64 v[84:85], v[144:145], s[0:1], v[164:165]
	v_add_f64 v[74:75], v[168:169], v[74:75]
	v_mul_f64 v[168:169], v[152:153], s[24:25]
	v_add_f64 v[72:73], v[84:85], v[72:73]
	v_fma_f64 v[170:171], v[146:147], s[0:1], v[168:169]
	v_fma_f64 v[84:85], v[146:147], s[0:1], -v[168:169]
	v_add_f64 v[86:87], v[170:171], v[86:87]
	v_mul_f64 v[170:171], v[138:139], s[20:21]
	v_add_f64 v[76:77], v[84:85], v[76:77]
	v_fma_f64 v[172:173], v[140:141], s[4:5], -v[170:171]
	v_fma_f64 v[84:85], v[140:141], s[4:5], v[170:171]
	v_add_f64 v[170:171], v[106:107], v[58:59]
	v_add_f64 v[228:229], v[172:173], v[74:75]
	v_mul_f64 v[74:75], v[136:137], s[20:21]
	v_add_f64 v[232:233], v[84:85], v[72:73]
	v_mul_f64 v[72:73], v[70:71], s[30:31]
	v_mul_f64 v[70:71], v[70:71], s[28:29]
	v_fma_f64 v[10:11], v[170:171], s[0:1], v[8:9]
	v_fma_f64 v[172:173], v[142:143], s[4:5], v[74:75]
	v_fma_f64 v[74:75], v[142:143], s[4:5], -v[74:75]
	v_add_f64 v[230:231], v[172:173], v[86:87]
	v_add_f64 v[234:235], v[74:75], v[76:77]
	v_fma_f64 v[74:75], v[80:81], s[14:15], -v[72:73]
	v_mul_f64 v[86:87], v[158:159], s[24:25]
	v_mul_f64 v[76:77], v[68:69], s[30:31]
	v_fma_f64 v[72:73], v[80:81], s[14:15], v[72:73]
	v_mul_f64 v[68:69], v[68:69], s[28:29]
	v_mul_f64 v[172:173], v[222:223], s[28:29]
	v_add_f64 v[74:75], v[74:75], v[180:181]
	v_fma_f64 v[160:161], v[148:149], s[0:1], -v[86:87]
	v_fma_f64 v[84:85], v[82:83], s[14:15], v[76:77]
	v_add_f64 v[72:73], v[72:73], v[78:79]
	v_fma_f64 v[76:77], v[82:83], s[14:15], -v[76:77]
	v_fma_f64 v[78:79], v[148:149], s[0:1], v[86:87]
	v_mul_f64 v[86:87], v[136:137], s[18:19]
	v_mul_f64 v[180:181], v[206:207], s[28:29]
	v_add_f64 v[74:75], v[160:161], v[74:75]
	v_mul_f64 v[160:161], v[156:157], s[24:25]
	v_add_f64 v[84:85], v[84:85], v[166:167]
	v_add_f64 v[76:77], v[76:77], v[182:183]
	;; [unrolled: 1-line block ×3, first 2 shown]
	v_mul_f64 v[182:183], v[224:225], s[30:31]
	v_fma_f64 v[162:163], v[150:151], s[0:1], v[160:161]
	v_fma_f64 v[78:79], v[150:151], s[0:1], -v[160:161]
	v_add_f64 v[160:161], v[110:111], v[102:103]
	v_add_f64 v[84:85], v[162:163], v[84:85]
	v_mul_f64 v[162:163], v[154:155], s[22:23]
	v_add_f64 v[76:77], v[78:79], v[76:77]
	v_fma_f64 v[18:19], v[160:161], s[16:17], v[16:17]
	v_fma_f64 v[164:165], v[144:145], s[12:13], -v[162:163]
	v_fma_f64 v[78:79], v[144:145], s[12:13], v[162:163]
	v_add_f64 v[162:163], v[92:93], v[52:53]
	v_add_f64 v[74:75], v[164:165], v[74:75]
	v_mul_f64 v[164:165], v[152:153], s[22:23]
	v_add_f64 v[72:73], v[78:79], v[72:73]
	v_fma_f64 v[166:167], v[146:147], s[12:13], v[164:165]
	v_fma_f64 v[78:79], v[146:147], s[12:13], -v[164:165]
	v_add_f64 v[84:85], v[166:167], v[84:85]
	v_mul_f64 v[166:167], v[138:139], s[36:37]
	v_add_f64 v[76:77], v[78:79], v[76:77]
	v_fma_f64 v[78:79], v[140:141], s[16:17], v[166:167]
	v_fma_f64 v[168:169], v[140:141], s[16:17], -v[166:167]
	v_add_f64 v[166:167], v[104:105], v[56:57]
	v_add_f64 v[240:241], v[78:79], v[72:73]
	v_fma_f64 v[72:73], v[80:81], s[0:1], -v[70:71]
	v_add_f64 v[236:237], v[168:169], v[74:75]
	v_mul_f64 v[74:75], v[136:137], s[36:37]
	v_add_f64 v[66:67], v[72:73], v[66:67]
	v_fma_f64 v[72:73], v[82:83], s[0:1], v[68:69]
	v_fma_f64 v[168:169], v[142:143], s[16:17], v[74:75]
	v_fma_f64 v[74:75], v[142:143], s[16:17], -v[74:75]
	v_add_f64 v[64:65], v[72:73], v[64:65]
	v_mul_f64 v[72:73], v[158:159], s[20:21]
	v_add_f64 v[242:243], v[74:75], v[76:77]
	v_add_f64 v[238:239], v[168:169], v[84:85]
	;; [unrolled: 1-line block ×4, first 2 shown]
	v_fma_f64 v[74:75], v[148:149], s[4:5], -v[72:73]
	v_fma_f64 v[14:15], v[158:159], s[12:13], v[12:13]
	v_add_f64 v[66:67], v[74:75], v[66:67]
	v_mul_f64 v[74:75], v[156:157], s[20:21]
	v_add_f64 v[156:157], v[112:113], v[96:97]
	v_fma_f64 v[76:77], v[150:151], s[4:5], v[74:75]
	v_add_f64 v[64:65], v[76:77], v[64:65]
	v_mul_f64 v[76:77], v[154:155], s[36:37]
	v_fma_f64 v[78:79], v[144:145], s[16:17], -v[76:77]
	v_add_f64 v[66:67], v[78:79], v[66:67]
	v_mul_f64 v[78:79], v[152:153], s[36:37]
	v_fma_f64 v[84:85], v[146:147], s[16:17], v[78:79]
	v_add_f64 v[64:65], v[84:85], v[64:65]
	v_mul_f64 v[84:85], v[138:139], s[18:19]
	v_mul_f64 v[138:139], v[222:223], s[22:23]
	v_fma_f64 v[136:137], v[140:141], s[14:15], -v[84:85]
	v_add_f64 v[244:245], v[136:137], v[66:67]
	v_fma_f64 v[66:67], v[142:143], s[14:15], v[86:87]
	v_mul_f64 v[136:137], v[254:255], s[20:21]
	v_add_f64 v[246:247], v[66:67], v[64:65]
	v_fma_f64 v[64:65], v[80:81], s[0:1], v[70:71]
	v_fma_f64 v[66:67], v[82:83], s[0:1], -v[68:69]
	v_add_f64 v[80:81], v[50:51], -v[90:91]
	v_add_f64 v[82:83], v[94:95], -v[54:55]
	v_add_f64 v[60:61], v[64:65], v[60:61]
	v_fma_f64 v[64:65], v[148:149], s[4:5], v[72:73]
	v_add_f64 v[62:63], v[66:67], v[62:63]
	v_fma_f64 v[66:67], v[150:151], s[4:5], -v[74:75]
	v_mul_f64 v[152:153], v[80:81], s[24:25]
	v_mul_f64 v[148:149], v[252:253], s[18:19]
	v_add_f64 v[150:151], v[108:109], v[100:101]
	v_mul_f64 v[194:195], v[80:81], s[26:27]
	v_mul_f64 v[188:189], v[82:83], s[20:21]
	;; [unrolled: 1-line block ×4, first 2 shown]
	v_add_f64 v[60:61], v[64:65], v[60:61]
	v_fma_f64 v[64:65], v[144:145], s[16:17], v[76:77]
	v_add_f64 v[62:63], v[66:67], v[62:63]
	v_fma_f64 v[66:67], v[146:147], s[16:17], -v[78:79]
	v_mul_f64 v[144:145], v[82:83], s[26:27]
	v_mul_f64 v[146:147], v[206:207], s[22:23]
	;; [unrolled: 1-line block ×4, first 2 shown]
	v_fma_f64 v[70:71], v[162:163], s[12:13], v[213:214]
	v_add_f64 v[60:61], v[64:65], v[60:61]
	v_fma_f64 v[64:65], v[140:141], s[14:15], v[84:85]
	v_add_f64 v[62:63], v[66:67], v[62:63]
	v_fma_f64 v[66:67], v[142:143], s[14:15], -v[86:87]
	v_add_f64 v[84:85], v[48:49], -v[88:89]
	v_add_f64 v[86:87], v[92:93], -v[52:53]
	v_mul_f64 v[142:143], v[226:227], s[18:19]
	v_mul_f64 v[140:141], v[224:225], s[20:21]
	v_fma_f64 v[74:75], v[162:163], s[14:15], -v[78:79]
	v_add_f64 v[248:249], v[64:65], v[60:61]
	v_fma_f64 v[60:61], v[168:169], s[0:1], v[152:153]
	v_add_f64 v[250:251], v[66:67], v[62:63]
	v_fma_f64 v[62:63], v[162:163], s[16:17], v[144:145]
	v_mul_f64 v[164:165], v[84:85], s[24:25]
	v_mul_f64 v[154:155], v[86:87], s[26:27]
	v_fma_f64 v[66:67], v[162:163], s[4:5], v[188:189]
	v_mul_f64 v[202:203], v[84:85], s[26:27]
	v_mul_f64 v[192:193], v[86:87], s[20:21]
	;; [unrolled: 1-line block ×5, first 2 shown]
	v_add_f64 v[60:61], v[44:45], v[60:61]
	v_fma_f64 v[64:65], v[174:175], s[16:17], -v[154:155]
	v_fma_f64 v[68:69], v[174:175], s[4:5], -v[192:193]
	;; [unrolled: 1-line block ×3, first 2 shown]
	v_fma_f64 v[6:7], v[174:175], s[14:15], v[4:5]
	v_fma_f64 v[4:5], v[174:175], s[14:15], -v[4:5]
	v_add_f64 v[60:61], v[62:63], v[60:61]
	v_fma_f64 v[62:63], v[176:177], s[0:1], -v[164:165]
	v_add_f64 v[62:63], v[46:47], v[62:63]
	v_add_f64 v[62:63], v[64:65], v[62:63]
	v_fma_f64 v[64:65], v[166:167], s[14:15], v[142:143]
	v_add_f64 v[60:61], v[64:65], v[60:61]
	v_fma_f64 v[64:65], v[170:171], s[14:15], -v[148:149]
	v_add_f64 v[62:63], v[64:65], v[62:63]
	v_fma_f64 v[64:65], v[156:157], s[4:5], v[136:137]
	v_add_f64 v[60:61], v[64:65], v[60:61]
	v_fma_f64 v[64:65], v[158:159], s[4:5], -v[140:141]
	;; [unrolled: 4-line block ×3, first 2 shown]
	v_add_f64 v[2:3], v[64:65], v[62:63]
	v_fma_f64 v[64:65], v[168:169], s[16:17], v[194:195]
	buffer_store_dword v0, off, s[40:43], 0 offset:16 ; 4-byte Folded Spill
	buffer_store_dword v1, off, s[40:43], 0 offset:20 ; 4-byte Folded Spill
	;; [unrolled: 1-line block ×4, first 2 shown]
	v_add_f64 v[64:65], v[44:45], v[64:65]
	v_add_f64 v[64:65], v[66:67], v[64:65]
	v_fma_f64 v[66:67], v[176:177], s[16:17], -v[202:203]
	v_add_f64 v[66:67], v[46:47], v[66:67]
	v_add_f64 v[66:67], v[68:69], v[66:67]
	v_fma_f64 v[68:69], v[166:167], s[12:13], v[184:185]
	v_add_f64 v[64:65], v[68:69], v[64:65]
	v_fma_f64 v[68:69], v[170:171], s[12:13], -v[186:187]
	v_add_f64 v[66:67], v[68:69], v[66:67]
	v_fma_f64 v[68:69], v[156:157], s[14:15], v[178:179]
	v_add_f64 v[64:65], v[68:69], v[64:65]
	v_fma_f64 v[68:69], v[158:159], s[14:15], -v[182:183]
	;; [unrolled: 4-line block ×3, first 2 shown]
	v_add_f64 v[2:3], v[68:69], v[66:67]
	v_fma_f64 v[68:69], v[168:169], s[14:15], v[217:218]
	buffer_store_dword v0, off, s[40:43], 0 offset:32 ; 4-byte Folded Spill
	buffer_store_dword v1, off, s[40:43], 0 offset:36 ; 4-byte Folded Spill
	;; [unrolled: 1-line block ×4, first 2 shown]
	v_add_f64 v[68:69], v[44:45], v[68:69]
	v_mul_f64 v[0:1], v[84:85], s[20:21]
	buffer_load_dword v23, off, s[40:43], 0 offset:12 ; 4-byte Folded Reload
	v_add_f64 v[68:69], v[70:71], v[68:69]
	v_fma_f64 v[70:71], v[176:177], s[14:15], -v[219:220]
	v_fma_f64 v[2:3], v[176:177], s[4:5], v[0:1]
	v_fma_f64 v[0:1], v[176:177], s[4:5], -v[0:1]
	v_add_f64 v[70:71], v[46:47], v[70:71]
	v_add_f64 v[2:3], v[46:47], v[2:3]
	;; [unrolled: 1-line block ×4, first 2 shown]
	v_fma_f64 v[72:73], v[166:167], s[16:17], v[209:210]
	v_add_f64 v[2:3], v[6:7], v[2:3]
	v_mul_f64 v[6:7], v[226:227], s[24:25]
	v_add_f64 v[0:1], v[4:5], v[0:1]
	v_add_f64 v[68:69], v[72:73], v[68:69]
	v_fma_f64 v[72:73], v[170:171], s[16:17], -v[211:212]
	v_add_f64 v[2:3], v[10:11], v[2:3]
	v_mul_f64 v[10:11], v[254:255], s[22:23]
	v_fma_f64 v[4:5], v[166:167], s[0:1], v[6:7]
	v_add_f64 v[70:71], v[72:73], v[70:71]
	v_fma_f64 v[72:73], v[156:157], s[0:1], v[198:199]
	v_add_f64 v[2:3], v[14:15], v[2:3]
	v_mul_f64 v[14:15], v[222:223], s[36:37]
	v_add_f64 v[68:69], v[72:73], v[68:69]
	v_fma_f64 v[72:73], v[158:159], s[0:1], -v[200:201]
	v_add_f64 v[70:71], v[72:73], v[70:71]
	v_fma_f64 v[72:73], v[150:151], s[4:5], v[190:191]
	v_add_f64 v[68:69], v[72:73], v[68:69]
	v_fma_f64 v[72:73], v[160:161], s[4:5], -v[196:197]
	v_add_f64 v[70:71], v[72:73], v[70:71]
	v_fma_f64 v[72:73], v[168:169], s[4:5], -v[76:77]
	v_add_f64 v[72:73], v[44:45], v[72:73]
	v_add_f64 v[72:73], v[74:75], v[72:73]
	v_fma_f64 v[74:75], v[166:167], s[0:1], -v[6:7]
	v_fma_f64 v[6:7], v[160:161], s[16:17], -v[16:17]
	v_add_f64 v[72:73], v[74:75], v[72:73]
	v_fma_f64 v[74:75], v[156:157], s[12:13], -v[10:11]
	v_add_f64 v[72:73], v[74:75], v[72:73]
	;; [unrolled: 2-line block ×3, first 2 shown]
	v_add_f64 v[74:75], v[18:19], v[2:3]
	v_fma_f64 v[2:3], v[168:169], s[4:5], v[76:77]
	v_fma_f64 v[18:19], v[162:163], s[14:15], v[78:79]
	v_add_f64 v[2:3], v[44:45], v[2:3]
	v_add_f64 v[2:3], v[18:19], v[2:3]
	;; [unrolled: 1-line block ×3, first 2 shown]
	v_fma_f64 v[4:5], v[170:171], s[0:1], -v[8:9]
	v_mul_f64 v[8:9], v[86:87], s[28:29]
	v_mul_f64 v[86:87], v[206:207], s[18:19]
	v_add_f64 v[0:1], v[4:5], v[0:1]
	v_fma_f64 v[4:5], v[156:157], s[12:13], v[10:11]
	v_add_f64 v[2:3], v[4:5], v[2:3]
	v_fma_f64 v[4:5], v[158:159], s[12:13], -v[12:13]
	v_fma_f64 v[12:13], v[174:175], s[0:1], v[8:9]
	v_add_f64 v[0:1], v[4:5], v[0:1]
	v_fma_f64 v[4:5], v[150:151], s[16:17], v[14:15]
	v_add_f64 v[78:79], v[6:7], v[0:1]
	v_mul_f64 v[0:1], v[80:81], s[22:23]
	v_add_f64 v[76:77], v[4:5], v[2:3]
	v_mul_f64 v[2:3], v[82:83], s[28:29]
	v_fma_f64 v[4:5], v[168:169], s[12:13], -v[0:1]
	v_fma_f64 v[0:1], v[168:169], s[12:13], v[0:1]
	v_fma_f64 v[6:7], v[162:163], s[0:1], -v[2:3]
	v_fma_f64 v[2:3], v[162:163], s[0:1], v[2:3]
	v_add_f64 v[4:5], v[44:45], v[4:5]
	v_add_f64 v[0:1], v[44:45], v[0:1]
	;; [unrolled: 1-line block ×3, first 2 shown]
	v_mul_f64 v[6:7], v[84:85], s[22:23]
	v_mul_f64 v[84:85], v[222:223], s[18:19]
	v_add_f64 v[0:1], v[2:3], v[0:1]
	v_fma_f64 v[10:11], v[176:177], s[12:13], v[6:7]
	v_fma_f64 v[2:3], v[176:177], s[12:13], -v[6:7]
	v_fma_f64 v[6:7], v[160:161], s[14:15], -v[86:87]
	v_add_f64 v[10:11], v[46:47], v[10:11]
	v_add_f64 v[2:3], v[46:47], v[2:3]
	;; [unrolled: 1-line block ×3, first 2 shown]
	v_mul_f64 v[12:13], v[226:227], s[20:21]
	v_fma_f64 v[14:15], v[166:167], s[4:5], -v[12:13]
	v_add_f64 v[4:5], v[14:15], v[4:5]
	v_mul_f64 v[14:15], v[252:253], s[20:21]
	v_fma_f64 v[16:17], v[170:171], s[4:5], v[14:15]
	v_add_f64 v[10:11], v[16:17], v[10:11]
	v_mul_f64 v[16:17], v[254:255], s[36:37]
	v_fma_f64 v[18:19], v[156:157], s[16:17], -v[16:17]
	v_add_f64 v[4:5], v[18:19], v[4:5]
	v_mul_f64 v[18:19], v[224:225], s[36:37]
	v_fma_f64 v[80:81], v[158:159], s[16:17], v[18:19]
	v_add_f64 v[10:11], v[80:81], v[10:11]
	v_fma_f64 v[80:81], v[150:151], s[14:15], -v[84:85]
	v_add_f64 v[80:81], v[80:81], v[4:5]
	v_fma_f64 v[4:5], v[160:161], s[14:15], v[86:87]
	v_add_f64 v[82:83], v[4:5], v[10:11]
	v_fma_f64 v[4:5], v[174:175], s[0:1], -v[8:9]
	v_add_f64 v[2:3], v[4:5], v[2:3]
	;; [unrolled: 4-line block ×4, first 2 shown]
	v_fma_f64 v[4:5], v[150:151], s[14:15], v[84:85]
	v_add_f64 v[86:87], v[6:7], v[2:3]
	v_add_f64 v[84:85], v[4:5], v[0:1]
	buffer_load_dword v1, off, s[40:43], 0  ; 4-byte Folded Reload
	s_waitcnt vmcnt(0)
	s_waitcnt_vscnt null, 0x0
	s_barrier
	buffer_gl0_inv
	v_mul_lo_u16 v0, v1, 11
	v_and_b32_e32 v0, 0xffff, v0
	v_lshl_add_u32 v227, v0, 4, v23
	ds_write_b128 v227, v[116:119]
	ds_write_b128 v227, v[124:127] offset:16
	ds_write_b128 v227, v[128:131] offset:32
	;; [unrolled: 1-line block ×10, first 2 shown]
	v_add_co_u32 v116, null, v1, 11
	v_mul_u32_u24_e32 v226, 11, v116
	s_and_saveexec_b32 s18, vcc_lo
	s_cbranch_execz .LBB0_7
; %bb.6:
	v_add_f64 v[0:1], v[46:47], v[50:51]
	v_add_f64 v[2:3], v[44:45], v[48:49]
	v_mul_f64 v[6:7], v[168:169], s[14:15]
	v_mul_f64 v[4:5], v[176:177], s[14:15]
	;; [unrolled: 1-line block ×12, first 2 shown]
	v_add_f64 v[0:1], v[0:1], v[94:95]
	v_add_f64 v[2:3], v[2:3], v[92:93]
	v_add_f64 v[6:7], v[6:7], -v[217:218]
	v_add_f64 v[4:5], v[219:220], v[4:5]
	v_mul_f64 v[92:93], v[174:175], s[16:17]
	v_mul_f64 v[94:95], v[162:163], s[16:17]
	v_add_f64 v[10:11], v[164:165], v[10:11]
	v_add_f64 v[12:13], v[12:13], -v[152:153]
	v_add_f64 v[18:19], v[18:19], -v[213:214]
	v_add_f64 v[16:17], v[215:216], v[16:17]
	v_add_f64 v[14:15], v[14:15], -v[194:195]
	v_add_f64 v[8:9], v[202:203], v[8:9]
	v_add_f64 v[48:49], v[192:193], v[48:49]
	v_add_f64 v[50:51], v[50:51], -v[188:189]
	v_add_f64 v[0:1], v[0:1], v[106:107]
	v_add_f64 v[2:3], v[2:3], v[104:105]
	;; [unrolled: 1-line block ×4, first 2 shown]
	v_mul_f64 v[104:105], v[166:167], s[14:15]
	v_add_f64 v[92:93], v[154:155], v[92:93]
	v_add_f64 v[94:95], v[94:95], -v[144:145]
	v_add_f64 v[10:11], v[46:47], v[10:11]
	v_add_f64 v[12:13], v[44:45], v[12:13]
	v_mul_f64 v[106:107], v[170:171], s[14:15]
	v_add_f64 v[14:15], v[44:45], v[14:15]
	v_mul_f64 v[44:45], v[156:157], s[4:5]
	;; [unrolled: 2-line block ×3, first 2 shown]
	v_add_f64 v[0:1], v[0:1], v[114:115]
	v_add_f64 v[2:3], v[2:3], v[112:113]
	v_mul_f64 v[112:113], v[166:167], s[16:17]
	v_mul_f64 v[114:115], v[170:171], s[16:17]
	v_add_f64 v[6:7], v[18:19], v[6:7]
	v_add_f64 v[4:5], v[16:17], v[4:5]
	v_add_f64 v[104:105], v[104:105], -v[142:143]
	v_add_f64 v[10:11], v[92:93], v[10:11]
	v_add_f64 v[12:13], v[94:95], v[12:13]
	v_mul_f64 v[92:93], v[150:151], s[4:5]
	v_add_f64 v[106:107], v[148:149], v[106:107]
	v_mul_f64 v[94:95], v[160:161], s[4:5]
	v_add_f64 v[44:45], v[44:45], -v[136:137]
	v_add_f64 v[46:47], v[140:141], v[46:47]
	v_add_f64 v[8:9], v[48:49], v[8:9]
	;; [unrolled: 1-line block ×3, first 2 shown]
	v_mul_f64 v[16:17], v[150:151], s[12:13]
	v_mul_f64 v[18:19], v[160:161], s[12:13]
	;; [unrolled: 1-line block ×4, first 2 shown]
	v_add_f64 v[0:1], v[0:1], v[110:111]
	v_add_f64 v[2:3], v[2:3], v[108:109]
	v_add_f64 v[112:113], v[112:113], -v[209:210]
	v_add_f64 v[114:115], v[211:212], v[114:115]
	v_mul_f64 v[108:109], v[166:167], s[12:13]
	v_mul_f64 v[110:111], v[170:171], s[12:13]
	v_add_f64 v[12:13], v[104:105], v[12:13]
	v_add_f64 v[10:11], v[106:107], v[10:11]
	v_add_f64 v[16:17], v[16:17], -v[138:139]
	v_add_f64 v[18:19], v[146:147], v[18:19]
	v_add_f64 v[48:49], v[48:49], -v[172:173]
	v_add_f64 v[50:51], v[180:181], v[50:51]
	v_add_f64 v[0:1], v[0:1], v[102:103]
	;; [unrolled: 1-line block ×5, first 2 shown]
	v_mul_f64 v[100:101], v[156:157], s[14:15]
	v_mul_f64 v[102:103], v[158:159], s[14:15]
	v_add_f64 v[110:111], v[186:187], v[110:111]
	v_add_f64 v[108:109], v[108:109], -v[184:185]
	v_add_f64 v[12:13], v[44:45], v[12:13]
	v_add_f64 v[10:11], v[46:47], v[10:11]
	;; [unrolled: 1-line block ×4, first 2 shown]
	v_add_f64 v[98:99], v[117:118], -v[198:199]
	v_add_f64 v[96:97], v[200:201], v[119:120]
	v_add_f64 v[100:101], v[100:101], -v[178:179]
	v_add_f64 v[102:103], v[182:183], v[102:103]
	v_add_f64 v[8:9], v[110:111], v[8:9]
	;; [unrolled: 1-line block ×5, first 2 shown]
	v_add_f64 v[58:59], v[92:93], -v[190:191]
	v_add_f64 v[6:7], v[98:99], v[6:7]
	v_add_f64 v[56:57], v[196:197], v[94:95]
	v_add_f64 v[4:5], v[96:97], v[4:5]
	v_add_f64 v[8:9], v[102:103], v[8:9]
	v_add_f64 v[14:15], v[100:101], v[14:15]
	v_add_f64 v[0:1], v[0:1], v[54:55]
	v_add_f64 v[2:3], v[2:3], v[52:53]
	v_add_f64 v[54:55], v[18:19], v[10:11]
	v_add_f64 v[44:45], v[58:59], v[6:7]
	v_add_f64 v[52:53], v[16:17], v[12:13]
	v_add_f64 v[46:47], v[56:57], v[4:5]
	v_add_f64 v[50:51], v[50:51], v[8:9]
	v_add_f64 v[48:49], v[48:49], v[14:15]
	v_add_f64 v[58:59], v[0:1], v[90:91]
	v_lshl_add_u32 v0, v226, 4, v23
	v_add_f64 v[56:57], v[2:3], v[88:89]
	ds_write_b128 v0, v[72:75] offset:64
	ds_write_b128 v0, v[80:83] offset:80
	;; [unrolled: 1-line block ×5, first 2 shown]
	s_clause 0x3
	buffer_load_dword v1, off, s[40:43], 0 offset:32
	buffer_load_dword v2, off, s[40:43], 0 offset:36
	;; [unrolled: 1-line block ×4, first 2 shown]
	s_waitcnt vmcnt(0)
	ds_write_b128 v0, v[1:4] offset:144
	ds_write_b128 v0, v[52:55] offset:16
	;; [unrolled: 1-line block ×4, first 2 shown]
	ds_write_b128 v0, v[56:59]
	s_clause 0x3
	buffer_load_dword v1, off, s[40:43], 0 offset:16
	buffer_load_dword v2, off, s[40:43], 0 offset:20
	;; [unrolled: 1-line block ×4, first 2 shown]
	s_waitcnt vmcnt(0)
	ds_write_b128 v0, v[1:4] offset:160
.LBB0_7:
	s_or_b32 exec_lo, exec_lo, s18
	buffer_load_dword v22, off, s[40:43], 0 ; 4-byte Folded Reload
	s_waitcnt vmcnt(0) lgkmcnt(0)
	s_barrier
	buffer_gl0_inv
	s_mov_b32 s12, 0x134454ff
	s_mov_b32 s13, 0x3fee6f0e
	;; [unrolled: 1-line block ×10, first 2 shown]
	v_lshlrev_b32_e32 v112, 6, v22
	v_lshl_add_u32 v209, v22, 4, v23
	s_clause 0x3
	global_load_dwordx4 v[56:59], v112, s[2:3]
	global_load_dwordx4 v[52:55], v112, s[2:3] offset:16
	global_load_dwordx4 v[48:51], v112, s[2:3] offset:32
	;; [unrolled: 1-line block ×3, first 2 shown]
	ds_read_b128 v[96:99], v221 offset:528
	ds_read_b128 v[92:95], v221 offset:1056
	ds_read_b128 v[88:91], v221 offset:1584
	ds_read_b128 v[121:124], v221 offset:352
	ds_read_b128 v[100:103], v221 offset:2112
	ds_read_b128 v[104:107], v221 offset:1232
	ds_read_b128 v[108:111], v221 offset:704
	ds_read_b128 v[125:128], v221 offset:1408
	ds_read_b128 v[117:120], v221 offset:2288
	s_waitcnt vmcnt(3) lgkmcnt(8)
	v_mul_f64 v[0:1], v[98:99], v[58:59]
	v_mul_f64 v[2:3], v[96:97], v[58:59]
	s_waitcnt vmcnt(1) lgkmcnt(6)
	v_mul_f64 v[8:9], v[90:91], v[50:51]
	v_mul_f64 v[10:11], v[88:89], v[50:51]
	;; [unrolled: 3-line block ×3, first 2 shown]
	v_mul_f64 v[6:7], v[92:93], v[54:55]
	v_mul_f64 v[12:13], v[100:101], v[46:47]
	s_waitcnt lgkmcnt(2)
	v_mul_f64 v[16:17], v[110:111], v[58:59]
	v_mul_f64 v[18:19], v[108:109], v[58:59]
	v_fma_f64 v[0:1], v[96:97], v[56:57], -v[0:1]
	v_fma_f64 v[2:3], v[98:99], v[56:57], v[2:3]
	ds_read_b128 v[96:99], v221 offset:880
	v_fma_f64 v[8:9], v[88:89], v[48:49], -v[8:9]
	v_fma_f64 v[10:11], v[90:91], v[48:49], v[10:11]
	ds_read_b128 v[88:91], v221 offset:1760
	v_fma_f64 v[14:15], v[100:101], v[44:45], -v[14:15]
	v_fma_f64 v[4:5], v[92:93], v[52:53], -v[4:5]
	v_fma_f64 v[6:7], v[94:95], v[52:53], v[6:7]
	v_mul_f64 v[92:93], v[106:107], v[54:55]
	v_mul_f64 v[94:95], v[104:105], v[54:55]
	v_fma_f64 v[12:13], v[102:103], v[44:45], v[12:13]
	v_fma_f64 v[16:17], v[108:109], v[56:57], -v[16:17]
	v_fma_f64 v[18:19], v[110:111], v[56:57], v[18:19]
	s_waitcnt lgkmcnt(0)
	v_mul_f64 v[100:101], v[90:91], v[50:51]
	v_add_f64 v[141:142], v[0:1], -v[14:15]
	v_add_f64 v[143:144], v[4:5], -v[8:9]
	;; [unrolled: 1-line block ×3, first 2 shown]
	v_fma_f64 v[113:114], v[104:105], v[52:53], -v[92:93]
	v_fma_f64 v[149:150], v[106:107], v[52:53], v[94:95]
	ds_read_b128 v[92:95], v221 offset:1936
	v_add_f64 v[137:138], v[2:3], -v[12:13]
	v_fma_f64 v[151:152], v[88:89], v[48:49], -v[100:101]
	v_mul_f64 v[88:89], v[88:89], v[50:51]
	v_fma_f64 v[153:154], v[90:91], v[48:49], v[88:89]
	v_mul_f64 v[88:89], v[117:118], v[46:47]
	v_fma_f64 v[155:156], v[119:120], v[44:45], v[88:89]
	v_mul_f64 v[88:89], v[119:120], v[46:47]
	v_add_co_u32 v120, null, v22, 22
	v_and_b32_e32 v20, 0xff, v120
	v_mul_lo_u16 v20, 0x75, v20
	v_lshrrev_b16 v20, 8, v20
	v_sub_nc_u16 v21, v120, v20
	v_fma_f64 v[117:118], v[117:118], v[44:45], -v[88:89]
	v_lshrrev_b16 v21, 1, v21
	v_and_b32_e32 v21, 0x7f, v21
	v_add_nc_u16 v20, v21, v20
	v_lshrrev_b16 v20, 3, v20
	v_add_f64 v[173:174], v[16:17], -v[117:118]
	v_mul_lo_u16 v20, v20, 11
	v_sub_nc_u16 v20, v120, v20
	v_lshlrev_b16 v21, 2, v20
	v_and_b32_e32 v21, 0xfc, v21
	v_lshlrev_b32_e32 v21, 4, v21
	s_clause 0x1
	global_load_dwordx4 v[104:107], v21, s[2:3]
	global_load_dwordx4 v[100:103], v21, s[2:3] offset:16
	s_waitcnt vmcnt(1)
	v_mul_f64 v[88:89], v[98:99], v[106:107]
	v_fma_f64 v[157:158], v[96:97], v[104:105], -v[88:89]
	v_mul_f64 v[88:89], v[96:97], v[106:107]
	v_fma_f64 v[159:160], v[98:99], v[104:105], v[88:89]
	s_clause 0x1
	global_load_dwordx4 v[108:111], v21, s[2:3] offset:32
	global_load_dwordx4 v[96:99], v21, s[2:3] offset:48
	s_waitcnt vmcnt(2)
	v_mul_f64 v[88:89], v[127:128], v[102:103]
	v_fma_f64 v[161:162], v[125:126], v[100:101], -v[88:89]
	v_mul_f64 v[88:89], v[125:126], v[102:103]
	v_add_f64 v[125:126], v[4:5], v[8:9]
	v_fma_f64 v[163:164], v[127:128], v[100:101], v[88:89]
	s_waitcnt vmcnt(1) lgkmcnt(0)
	v_mul_f64 v[88:89], v[94:95], v[110:111]
	v_fma_f64 v[165:166], v[92:93], v[108:109], -v[88:89]
	v_mul_f64 v[88:89], v[92:93], v[110:111]
	v_fma_f64 v[167:168], v[94:95], v[108:109], v[88:89]
	ds_read_b128 v[88:91], v221 offset:2464
	s_waitcnt vmcnt(0) lgkmcnt(0)
	v_mul_f64 v[92:93], v[90:91], v[98:99]
	v_fma_f64 v[169:170], v[88:89], v[96:97], -v[92:93]
	v_mul_f64 v[88:89], v[88:89], v[98:99]
	v_fma_f64 v[171:172], v[90:91], v[96:97], v[88:89]
	v_add_f64 v[88:89], v[0:1], -v[4:5]
	v_add_f64 v[90:91], v[14:15], -v[8:9]
	v_add_f64 v[129:130], v[88:89], v[90:91]
	v_add_f64 v[88:89], v[2:3], -v[6:7]
	v_add_f64 v[90:91], v[12:13], -v[10:11]
	v_add_f64 v[131:132], v[88:89], v[90:91]
	ds_read_b128 v[88:91], v221
	ds_read_b128 v[92:95], v221 offset:176
	s_waitcnt lgkmcnt(0)
	s_barrier
	buffer_gl0_inv
	v_fma_f64 v[133:134], v[125:126], -0.5, v[88:89]
	v_add_f64 v[125:126], v[6:7], v[10:11]
	v_fma_f64 v[135:136], v[125:126], -0.5, v[90:91]
	v_fma_f64 v[125:126], v[137:138], s[12:13], v[133:134]
	v_fma_f64 v[133:134], v[137:138], s[14:15], v[133:134]
	;; [unrolled: 1-line block ×10, first 2 shown]
	v_add_f64 v[133:134], v[0:1], v[14:15]
	v_fma_f64 v[127:128], v[131:132], s[16:17], v[127:128]
	v_fma_f64 v[131:132], v[131:132], s[16:17], v[135:136]
	v_add_f64 v[135:136], v[2:3], v[12:13]
	v_fma_f64 v[133:134], v[133:134], -0.5, v[88:89]
	v_add_f64 v[88:89], v[88:89], v[0:1]
	v_add_f64 v[0:1], v[4:5], -v[0:1]
	v_fma_f64 v[135:136], v[135:136], -0.5, v[90:91]
	v_add_f64 v[90:91], v[90:91], v[2:3]
	v_add_f64 v[2:3], v[6:7], -v[2:3]
	v_add_f64 v[4:5], v[88:89], v[4:5]
	v_add_f64 v[88:89], v[90:91], v[6:7]
	;; [unrolled: 1-line block ×3, first 2 shown]
	v_add_f64 v[8:9], v[8:9], -v[14:15]
	v_add_f64 v[6:7], v[88:89], v[10:11]
	v_add_f64 v[88:89], v[4:5], v[14:15]
	v_add_f64 v[4:5], v[10:11], -v[12:13]
	v_fma_f64 v[10:11], v[139:140], s[12:13], v[133:134]
	v_fma_f64 v[14:15], v[143:144], s[14:15], v[135:136]
	v_add_f64 v[0:1], v[0:1], v[8:9]
	v_add_f64 v[90:91], v[6:7], v[12:13]
	v_fma_f64 v[6:7], v[139:140], s[14:15], v[133:134]
	v_fma_f64 v[12:13], v[143:144], s[12:13], v[135:136]
	v_add_f64 v[2:3], v[2:3], v[4:5]
	v_fma_f64 v[4:5], v[137:138], s[0:1], v[6:7]
	v_fma_f64 v[6:7], v[137:138], s[4:5], v[10:11]
	;; [unrolled: 1-line block ×4, first 2 shown]
	v_add_f64 v[14:15], v[113:114], -v[151:152]
	v_fma_f64 v[133:134], v[0:1], s[16:17], v[4:5]
	v_fma_f64 v[137:138], v[0:1], s[16:17], v[6:7]
	;; [unrolled: 1-line block ×4, first 2 shown]
	v_add_f64 v[0:1], v[113:114], -v[16:17]
	v_add_f64 v[2:3], v[151:152], -v[117:118]
	;; [unrolled: 1-line block ×3, first 2 shown]
	v_add_f64 v[6:7], v[18:19], v[155:156]
	v_add_f64 v[8:9], v[149:150], -v[153:154]
	v_add_f64 v[10:11], v[18:19], -v[155:156]
	v_add_f64 v[0:1], v[0:1], v[2:3]
	v_add_f64 v[2:3], v[149:150], -v[18:19]
	v_fma_f64 v[6:7], v[6:7], -0.5, v[94:95]
	v_add_f64 v[2:3], v[2:3], v[4:5]
	v_add_f64 v[4:5], v[16:17], v[117:118]
	v_fma_f64 v[141:142], v[14:15], s[12:13], v[6:7]
	v_fma_f64 v[6:7], v[14:15], s[14:15], v[6:7]
	v_fma_f64 v[4:5], v[4:5], -0.5, v[92:93]
	v_fma_f64 v[143:144], v[173:174], s[4:5], v[141:142]
	v_fma_f64 v[6:7], v[173:174], s[0:1], v[6:7]
	;; [unrolled: 1-line block ×5, first 2 shown]
	v_add_f64 v[6:7], v[94:95], v[18:19]
	v_fma_f64 v[143:144], v[2:3], s[16:17], v[143:144]
	v_add_f64 v[2:3], v[149:150], v[153:154]
	v_fma_f64 v[12:13], v[10:11], s[0:1], v[12:13]
	v_fma_f64 v[4:5], v[10:11], s[4:5], v[4:5]
	v_add_f64 v[6:7], v[6:7], v[149:150]
	v_fma_f64 v[2:3], v[2:3], -0.5, v[94:95]
	v_fma_f64 v[141:142], v[0:1], s[16:17], v[12:13]
	v_fma_f64 v[145:146], v[0:1], s[16:17], v[4:5]
	v_add_f64 v[4:5], v[92:93], v[16:17]
	v_add_f64 v[0:1], v[113:114], v[151:152]
	;; [unrolled: 1-line block ×3, first 2 shown]
	v_add_f64 v[12:13], v[16:17], -v[113:114]
	v_add_f64 v[16:17], v[18:19], -v[149:150]
	;; [unrolled: 1-line block ×3, first 2 shown]
	v_add_f64 v[4:5], v[4:5], v[113:114]
	v_fma_f64 v[0:1], v[0:1], -0.5, v[92:93]
	v_add_f64 v[94:95], v[6:7], v[155:156]
	v_add_f64 v[113:114], v[169:170], -v[165:166]
	v_add_f64 v[12:13], v[12:13], v[18:19]
	v_add_f64 v[4:5], v[4:5], v[151:152]
	v_fma_f64 v[6:7], v[10:11], s[12:13], v[0:1]
	v_fma_f64 v[0:1], v[10:11], s[14:15], v[0:1]
	;; [unrolled: 1-line block ×4, first 2 shown]
	v_add_f64 v[92:93], v[4:5], v[117:118]
	v_add_f64 v[4:5], v[155:156], -v[153:154]
	v_fma_f64 v[0:1], v[8:9], s[4:5], v[0:1]
	v_fma_f64 v[6:7], v[8:9], s[0:1], v[6:7]
	;; [unrolled: 1-line block ×4, first 2 shown]
	v_add_f64 v[14:15], v[161:162], -v[165:166]
	v_add_f64 v[10:11], v[159:160], -v[171:172]
	ds_write_b128 v221, v[88:91]
	ds_write_b128 v221, v[92:95] offset:880
	ds_write_b128 v221, v[125:128] offset:176
	;; [unrolled: 1-line block ×3, first 2 shown]
	v_lshlrev_b32_e32 v128, 5, v22
	v_add_f64 v[4:5], v[16:17], v[4:5]
	v_fma_f64 v[153:154], v[12:13], s[16:17], v[0:1]
	v_add_f64 v[0:1], v[161:162], -v[157:158]
	v_fma_f64 v[149:150], v[12:13], s[16:17], v[6:7]
	v_add_f64 v[6:7], v[159:160], v[171:172]
	v_add_f64 v[16:17], v[157:158], -v[169:170]
	v_fma_f64 v[155:156], v[4:5], s[16:17], v[2:3]
	v_add_f64 v[2:3], v[165:166], -v[169:170]
	v_fma_f64 v[151:152], v[4:5], s[16:17], v[8:9]
	v_add_f64 v[4:5], v[167:168], -v[171:172]
	v_fma_f64 v[6:7], v[6:7], -0.5, v[123:124]
	v_add_f64 v[8:9], v[163:164], -v[167:168]
	ds_write_b128 v221, v[137:140] offset:528
	ds_write_b128 v221, v[129:132] offset:704
	;; [unrolled: 1-line block ×3, first 2 shown]
	v_add_f64 v[0:1], v[0:1], v[2:3]
	v_add_f64 v[2:3], v[163:164], -v[159:160]
	ds_write_b128 v221, v[141:144] offset:1232
	v_fma_f64 v[18:19], v[14:15], s[12:13], v[6:7]
	v_fma_f64 v[6:7], v[14:15], s[14:15], v[6:7]
	v_add_f64 v[2:3], v[2:3], v[4:5]
	v_add_f64 v[4:5], v[157:158], v[169:170]
	v_fma_f64 v[18:19], v[16:17], s[4:5], v[18:19]
	v_fma_f64 v[6:7], v[16:17], s[0:1], v[6:7]
	v_fma_f64 v[4:5], v[4:5], -0.5, v[121:122]
	v_fma_f64 v[90:91], v[2:3], s[16:17], v[18:19]
	v_fma_f64 v[94:95], v[2:3], s[16:17], v[6:7]
	v_add_f64 v[6:7], v[123:124], v[159:160]
	v_add_f64 v[2:3], v[163:164], v[167:168]
	v_add_f64 v[18:19], v[159:160], -v[163:164]
	v_fma_f64 v[12:13], v[8:9], s[14:15], v[4:5]
	v_fma_f64 v[4:5], v[8:9], s[12:13], v[4:5]
	v_add_f64 v[6:7], v[6:7], v[163:164]
	v_fma_f64 v[2:3], v[2:3], -0.5, v[123:124]
	v_fma_f64 v[12:13], v[10:11], s[0:1], v[12:13]
	v_fma_f64 v[4:5], v[10:11], s[4:5], v[4:5]
	v_add_f64 v[6:7], v[6:7], v[167:168]
	v_fma_f64 v[88:89], v[0:1], s[16:17], v[12:13]
	v_fma_f64 v[92:93], v[0:1], s[16:17], v[4:5]
	v_add_f64 v[4:5], v[121:122], v[157:158]
	v_add_f64 v[0:1], v[161:162], v[165:166]
	v_add_f64 v[12:13], v[157:158], -v[161:162]
	v_add_f64 v[123:124], v[6:7], v[171:172]
	v_add_f64 v[4:5], v[4:5], v[161:162]
	v_fma_f64 v[0:1], v[0:1], -0.5, v[121:122]
	v_add_f64 v[12:13], v[12:13], v[113:114]
	v_add_f64 v[4:5], v[4:5], v[165:166]
	v_fma_f64 v[6:7], v[10:11], s[12:13], v[0:1]
	v_fma_f64 v[0:1], v[10:11], s[14:15], v[0:1]
	v_fma_f64 v[10:11], v[16:17], s[14:15], v[2:3]
	v_fma_f64 v[2:3], v[16:17], s[12:13], v[2:3]
	v_lshlrev_b32_e32 v16, 5, v120
	v_add_f64 v[121:122], v[4:5], v[169:170]
	v_add_f64 v[4:5], v[171:172], -v[167:168]
	v_fma_f64 v[6:7], v[8:9], s[0:1], v[6:7]
	v_fma_f64 v[0:1], v[8:9], s[4:5], v[0:1]
	;; [unrolled: 1-line block ×4, first 2 shown]
	v_add_f64 v[4:5], v[18:19], v[4:5]
	v_fma_f64 v[133:134], v[12:13], s[16:17], v[6:7]
	v_fma_f64 v[157:158], v[12:13], s[16:17], v[0:1]
	v_and_b32_e32 v0, 0xff, v20
	v_add_co_u32 v1, s0, s2, v112
	v_add_nc_u32_e32 v20, 0x420, v128
	v_lshl_add_u32 v210, v0, 4, v23
	v_fma_f64 v[135:136], v[4:5], s[16:17], v[8:9]
	v_fma_f64 v[159:160], v[4:5], s[16:17], v[2:3]
	v_add_co_ci_u32_e64 v2, null, s3, 0, s0
	v_sub_co_u32 v0, s0, v1, v128
	ds_write_b128 v221, v[145:148] offset:1408
	ds_write_b128 v221, v[153:156] offset:1584
	;; [unrolled: 1-line block ×7, first 2 shown]
	v_subrev_co_ci_u32_e64 v1, s0, 0, v2, s0
	s_waitcnt lgkmcnt(0)
	s_barrier
	buffer_gl0_inv
	s_clause 0x1
	global_load_dwordx4 v[88:91], v[0:1], off offset:704
	global_load_dwordx4 v[92:95], v[0:1], off offset:720
	v_lshlrev_b32_e32 v8, 5, v116
	ds_read_b128 v[121:124], v221 offset:880
	ds_read_b128 v[148:151], v221 offset:704
	s_mov_b32 s0, 0xe8584caa
	s_mov_b32 s1, 0x3febb67a
	global_load_dwordx4 v[112:115], v8, s[2:3] offset:704
	ds_read_b128 v[116:119], v221 offset:1760
	ds_read_b128 v[129:132], v221 offset:1936
	s_waitcnt vmcnt(2) lgkmcnt(3)
	v_mul_f64 v[0:1], v[123:124], v[90:91]
	v_mul_f64 v[2:3], v[121:122], v[90:91]
	s_waitcnt vmcnt(1) lgkmcnt(1)
	v_mul_f64 v[4:5], v[118:119], v[94:95]
	v_mul_f64 v[6:7], v[116:117], v[94:95]
	v_fma_f64 v[0:1], v[121:122], v[88:89], -v[0:1]
	v_fma_f64 v[2:3], v[123:124], v[88:89], v[2:3]
	v_fma_f64 v[4:5], v[116:117], v[92:93], -v[4:5]
	v_fma_f64 v[6:7], v[118:119], v[92:93], v[6:7]
	global_load_dwordx4 v[116:119], v8, s[2:3] offset:720
	ds_read_b128 v[121:124], v221 offset:1056
	ds_read_b128 v[133:136], v221 offset:1232
	s_waitcnt vmcnt(1) lgkmcnt(1)
	v_mul_f64 v[8:9], v[123:124], v[114:115]
	v_mul_f64 v[10:11], v[121:122], v[114:115]
	v_add_f64 v[160:161], v[0:1], v[4:5]
	v_fma_f64 v[8:9], v[121:122], v[112:113], -v[8:9]
	v_fma_f64 v[10:11], v[123:124], v[112:113], v[10:11]
	s_clause 0x1
	global_load_dwordx4 v[124:127], v16, s[2:3] offset:704
	global_load_dwordx4 v[120:123], v16, s[2:3] offset:720
	s_waitcnt vmcnt(2)
	v_mul_f64 v[12:13], v[131:132], v[118:119]
	v_mul_f64 v[14:15], v[129:130], v[118:119]
	v_fma_f64 v[12:13], v[129:130], v[116:117], -v[12:13]
	v_fma_f64 v[14:15], v[131:132], v[116:117], v[14:15]
	ds_read_b128 v[129:132], v221 offset:2112
	ds_read_b128 v[140:143], v221 offset:2288
	s_waitcnt vmcnt(1) lgkmcnt(2)
	v_mul_f64 v[16:17], v[135:136], v[126:127]
	v_mul_f64 v[18:19], v[133:134], v[126:127]
	v_fma_f64 v[16:17], v[133:134], v[124:125], -v[16:17]
	s_waitcnt vmcnt(0) lgkmcnt(1)
	v_mul_f64 v[133:134], v[131:132], v[122:123]
	v_fma_f64 v[18:19], v[135:136], v[124:125], v[18:19]
	v_fma_f64 v[156:157], v[129:130], v[120:121], -v[133:134]
	v_mul_f64 v[129:130], v[129:130], v[122:123]
	v_fma_f64 v[158:159], v[131:132], v[120:121], v[129:130]
	s_clause 0x1
	global_load_dwordx4 v[136:139], v20, s[2:3] offset:704
	global_load_dwordx4 v[132:135], v20, s[2:3] offset:720
	ds_read_b128 v[144:147], v221 offset:1408
	ds_read_b128 v[152:155], v221 offset:1584
	v_add_nc_u32_e32 v20, 0x580, v128
	s_waitcnt vmcnt(1) lgkmcnt(1)
	v_mul_f64 v[129:130], v[146:147], v[138:139]
	v_fma_f64 v[200:201], v[144:145], v[136:137], -v[129:130]
	v_mul_f64 v[129:130], v[144:145], v[138:139]
	v_fma_f64 v[196:197], v[146:147], v[136:137], v[129:130]
	s_waitcnt vmcnt(0)
	v_mul_f64 v[129:130], v[142:143], v[134:135]
	v_fma_f64 v[202:203], v[140:141], v[132:133], -v[129:130]
	v_mul_f64 v[129:130], v[140:141], v[134:135]
	v_fma_f64 v[198:199], v[142:143], v[132:133], v[129:130]
	s_clause 0x1
	global_load_dwordx4 v[140:143], v20, s[2:3] offset:704
	global_load_dwordx4 v[128:131], v20, s[2:3] offset:720
	s_mov_b32 s3, 0xbfebb67a
	s_mov_b32 s2, s0
	s_waitcnt vmcnt(1) lgkmcnt(0)
	v_mul_f64 v[144:145], v[154:155], v[142:143]
	v_fma_f64 v[206:207], v[152:153], v[140:141], -v[144:145]
	v_mul_f64 v[144:145], v[152:153], v[142:143]
	v_fma_f64 v[211:212], v[154:155], v[140:141], v[144:145]
	ds_read_b128 v[144:147], v221 offset:2464
	s_waitcnt vmcnt(0) lgkmcnt(0)
	v_mul_f64 v[152:153], v[146:147], v[130:131]
	v_fma_f64 v[213:214], v[144:145], v[128:129], -v[152:153]
	v_mul_f64 v[144:145], v[144:145], v[130:131]
	v_fma_f64 v[215:216], v[146:147], v[128:129], v[144:145]
	ds_read_b128 v[144:147], v221
	ds_read_b128 v[152:155], v221 offset:176
	s_waitcnt lgkmcnt(1)
	v_fma_f64 v[166:167], v[160:161], -0.5, v[144:145]
	v_add_f64 v[160:161], v[2:3], v[6:7]
	v_add_f64 v[144:145], v[144:145], v[0:1]
	v_add_f64 v[0:1], v[0:1], -v[4:5]
	v_fma_f64 v[170:171], v[160:161], -0.5, v[146:147]
	v_add_f64 v[146:147], v[146:147], v[2:3]
	v_add_f64 v[2:3], v[2:3], -v[6:7]
	v_add_f64 v[160:161], v[144:145], v[4:5]
	s_waitcnt lgkmcnt(0)
	v_add_f64 v[4:5], v[154:155], v[10:11]
	v_add_f64 v[162:163], v[146:147], v[6:7]
	v_fma_f64 v[164:165], v[2:3], s[0:1], v[166:167]
	v_fma_f64 v[168:169], v[2:3], s[2:3], v[166:167]
	;; [unrolled: 1-line block ×4, first 2 shown]
	v_add_f64 v[0:1], v[8:9], v[12:13]
	v_add_f64 v[2:3], v[10:11], v[14:15]
	v_add_f64 v[10:11], v[10:11], -v[14:15]
	v_add_f64 v[174:175], v[4:5], v[14:15]
	v_add_f64 v[4:5], v[8:9], -v[12:13]
	;; [unrolled: 2-line block ×3, first 2 shown]
	v_fma_f64 v[0:1], v[0:1], -0.5, v[152:153]
	v_fma_f64 v[2:3], v[2:3], -0.5, v[154:155]
	ds_read_b128 v[144:147], v221 offset:352
	ds_read_b128 v[152:155], v221 offset:528
	ds_write_b128 v221, v[160:163]
	v_add_f64 v[172:173], v[6:7], v[12:13]
	s_waitcnt lgkmcnt(2)
	v_add_f64 v[6:7], v[144:145], v[16:17]
	v_fma_f64 v[176:177], v[10:11], s[0:1], v[0:1]
	v_fma_f64 v[180:181], v[10:11], s[2:3], v[0:1]
	;; [unrolled: 1-line block ×4, first 2 shown]
	v_add_f64 v[0:1], v[16:17], v[156:157]
	v_add_f64 v[2:3], v[18:19], v[158:159]
	;; [unrolled: 1-line block ×4, first 2 shown]
	s_waitcnt lgkmcnt(1)
	v_add_f64 v[6:7], v[152:153], v[200:201]
	v_fma_f64 v[0:1], v[0:1], -0.5, v[144:145]
	v_fma_f64 v[2:3], v[2:3], -0.5, v[146:147]
	v_add_f64 v[186:187], v[4:5], v[158:159]
	v_add_f64 v[4:5], v[16:17], -v[156:157]
	v_fma_f64 v[188:189], v[8:9], s[0:1], v[0:1]
	v_fma_f64 v[192:193], v[8:9], s[2:3], v[0:1]
	v_add_f64 v[0:1], v[200:201], v[202:203]
	v_fma_f64 v[190:191], v[4:5], s[2:3], v[2:3]
	v_fma_f64 v[194:195], v[4:5], s[0:1], v[2:3]
	v_add_f64 v[2:3], v[196:197], v[198:199]
	v_add_f64 v[4:5], v[154:155], v[196:197]
	v_add_f64 v[8:9], v[196:197], -v[198:199]
	v_add_f64 v[196:197], v[6:7], v[202:203]
	v_add_f64 v[6:7], v[148:149], v[206:207]
	v_fma_f64 v[0:1], v[0:1], -0.5, v[152:153]
	v_fma_f64 v[2:3], v[2:3], -0.5, v[154:155]
	v_add_f64 v[198:199], v[4:5], v[198:199]
	v_add_f64 v[4:5], v[200:201], -v[202:203]
	v_add_f64 v[156:157], v[6:7], v[213:214]
	v_fma_f64 v[200:201], v[8:9], s[0:1], v[0:1]
	v_fma_f64 v[144:145], v[8:9], s[2:3], v[0:1]
	v_add_f64 v[0:1], v[206:207], v[213:214]
	v_add_f64 v[8:9], v[211:212], -v[215:216]
	v_fma_f64 v[202:203], v[4:5], s[2:3], v[2:3]
	v_fma_f64 v[146:147], v[4:5], s[0:1], v[2:3]
	v_add_f64 v[2:3], v[211:212], v[215:216]
	v_add_f64 v[4:5], v[150:151], v[211:212]
	v_fma_f64 v[0:1], v[0:1], -0.5, v[148:149]
	v_fma_f64 v[2:3], v[2:3], -0.5, v[150:151]
	v_add_f64 v[158:159], v[4:5], v[215:216]
	v_add_f64 v[4:5], v[206:207], -v[213:214]
	v_fma_f64 v[148:149], v[8:9], s[0:1], v[0:1]
	v_fma_f64 v[152:153], v[8:9], s[2:3], v[0:1]
	;; [unrolled: 1-line block ×4, first 2 shown]
	ds_write_b128 v209, v[172:175] offset:176
	ds_write_b128 v209, v[184:187] offset:352
	;; [unrolled: 1-line block ×14, first 2 shown]
	s_waitcnt lgkmcnt(0)
	s_barrier
	buffer_gl0_inv
	s_clause 0x1
	buffer_load_dword v0, off, s[40:43], 0 offset:4
	buffer_load_dword v1, off, s[40:43], 0 offset:8
	s_waitcnt vmcnt(0)
	global_load_dwordx4 v[160:163], v[0:1], off offset:592
	ds_read_b128 v[164:167], v221
	ds_read_b128 v[168:171], v221 offset:240
	s_waitcnt vmcnt(0) lgkmcnt(1)
	v_mul_f64 v[0:1], v[166:167], v[162:163]
	v_mul_f64 v[2:3], v[164:165], v[162:163]
	v_fma_f64 v[162:163], v[164:165], v[160:161], -v[0:1]
	v_fma_f64 v[164:165], v[166:167], v[160:161], v[2:3]
	v_add_co_u32 v160, s0, 0xa50, v204
	v_add_co_ci_u32_e64 v161, s0, 0, v205, s0
	s_clause 0x1
	global_load_dwordx4 v[172:175], v[160:161], off offset:240
	global_load_dwordx4 v[176:179], v[160:161], off offset:480
	s_waitcnt vmcnt(1) lgkmcnt(0)
	v_mul_f64 v[0:1], v[170:171], v[174:175]
	v_mul_f64 v[2:3], v[168:169], v[174:175]
	v_fma_f64 v[166:167], v[168:169], v[172:173], -v[0:1]
	v_fma_f64 v[168:169], v[170:171], v[172:173], v[2:3]
	ds_read_b128 v[170:173], v221 offset:480
	ds_read_b128 v[180:183], v221 offset:720
	s_waitcnt vmcnt(0) lgkmcnt(1)
	v_mul_f64 v[0:1], v[172:173], v[178:179]
	v_mul_f64 v[2:3], v[170:171], v[178:179]
	v_fma_f64 v[170:171], v[170:171], v[176:177], -v[0:1]
	v_fma_f64 v[172:173], v[172:173], v[176:177], v[2:3]
	s_clause 0x1
	global_load_dwordx4 v[174:177], v[160:161], off offset:720
	global_load_dwordx4 v[184:187], v[160:161], off offset:960
	s_waitcnt vmcnt(1) lgkmcnt(0)
	v_mul_f64 v[0:1], v[182:183], v[176:177]
	v_mul_f64 v[2:3], v[180:181], v[176:177]
	v_fma_f64 v[176:177], v[180:181], v[174:175], -v[0:1]
	v_fma_f64 v[178:179], v[182:183], v[174:175], v[2:3]
	ds_read_b128 v[180:183], v221 offset:960
	ds_read_b128 v[188:191], v221 offset:1200
	s_waitcnt vmcnt(0) lgkmcnt(1)
	v_mul_f64 v[0:1], v[182:183], v[186:187]
	v_mul_f64 v[2:3], v[180:181], v[186:187]
	v_fma_f64 v[180:181], v[180:181], v[184:185], -v[0:1]
	v_fma_f64 v[182:183], v[182:183], v[184:185], v[2:3]
	s_clause 0x1
	global_load_dwordx4 v[184:187], v[160:161], off offset:1200
	global_load_dwordx4 v[192:195], v[160:161], off offset:1440
	ds_read_b128 v[196:199], v221 offset:1440
	ds_read_b128 v[200:203], v221 offset:1680
	s_waitcnt vmcnt(1) lgkmcnt(2)
	v_mul_f64 v[0:1], v[190:191], v[186:187]
	v_mul_f64 v[2:3], v[188:189], v[186:187]
	v_fma_f64 v[186:187], v[188:189], v[184:185], -v[0:1]
	s_waitcnt vmcnt(0) lgkmcnt(1)
	v_mul_f64 v[0:1], v[198:199], v[194:195]
	v_fma_f64 v[188:189], v[190:191], v[184:185], v[2:3]
	v_mul_f64 v[2:3], v[196:197], v[194:195]
	v_fma_f64 v[190:191], v[196:197], v[192:193], -v[0:1]
	s_clause 0x1
	global_load_dwordx4 v[194:197], v[160:161], off offset:1680
	global_load_dwordx4 v[211:214], v[160:161], off offset:1920
	v_fma_f64 v[192:193], v[198:199], v[192:193], v[2:3]
	s_waitcnt vmcnt(1) lgkmcnt(0)
	v_mul_f64 v[0:1], v[202:203], v[196:197]
	v_mul_f64 v[2:3], v[200:201], v[196:197]
	v_fma_f64 v[196:197], v[200:201], v[194:195], -v[0:1]
	v_fma_f64 v[198:199], v[202:203], v[194:195], v[2:3]
	ds_read_b128 v[200:203], v221 offset:1920
	ds_read_b128 v[215:218], v221 offset:2160
	s_waitcnt vmcnt(0) lgkmcnt(1)
	v_mul_f64 v[0:1], v[202:203], v[213:214]
	v_mul_f64 v[2:3], v[200:201], v[213:214]
	v_fma_f64 v[200:201], v[200:201], v[211:212], -v[0:1]
	v_add_co_u32 v0, s0, 0x1000, v204
	v_add_co_ci_u32_e64 v1, s0, 0, v205, s0
	v_fma_f64 v[202:203], v[202:203], v[211:212], v[2:3]
	s_clause 0x1
	global_load_dwordx4 v[211:214], v[0:1], off offset:704
	global_load_dwordx4 v[228:231], v[0:1], off offset:944
	s_waitcnt vmcnt(1) lgkmcnt(0)
	v_mul_f64 v[0:1], v[217:218], v[213:214]
	v_mul_f64 v[2:3], v[215:216], v[213:214]
	v_fma_f64 v[213:214], v[215:216], v[211:212], -v[0:1]
	v_fma_f64 v[215:216], v[217:218], v[211:212], v[2:3]
	ds_read_b128 v[217:220], v221 offset:2400
	s_waitcnt vmcnt(0) lgkmcnt(0)
	v_mul_f64 v[0:1], v[219:220], v[230:231]
	v_mul_f64 v[2:3], v[217:218], v[230:231]
	v_fma_f64 v[217:218], v[217:218], v[228:229], -v[0:1]
	v_fma_f64 v[219:220], v[219:220], v[228:229], v[2:3]
	ds_write_b128 v221, v[162:165]
	ds_write_b128 v221, v[166:169] offset:240
	ds_write_b128 v221, v[170:173] offset:480
	;; [unrolled: 1-line block ×10, first 2 shown]
	s_and_saveexec_b32 s1, vcc_lo
	s_cbranch_execz .LBB0_9
; %bb.8:
	s_clause 0x7
	global_load_dwordx4 v[162:165], v[160:161], off offset:176
	global_load_dwordx4 v[166:169], v[160:161], off offset:416
	;; [unrolled: 1-line block ×8, first 2 shown]
	v_add_co_u32 v0, s0, 0x800, v160
	v_add_co_ci_u32_e64 v1, s0, 0, v161, s0
	s_clause 0x2
	global_load_dwordx4 v[194:197], v[0:1], off offset:48
	global_load_dwordx4 v[198:201], v[0:1], off offset:288
	;; [unrolled: 1-line block ×3, first 2 shown]
	ds_read_b128 v[215:218], v209 offset:176
	ds_read_b128 v[228:231], v209 offset:416
	;; [unrolled: 1-line block ×4, first 2 shown]
	s_waitcnt vmcnt(10) lgkmcnt(3)
	v_mul_f64 v[0:1], v[217:218], v[164:165]
	v_mul_f64 v[2:3], v[215:216], v[164:165]
	s_waitcnt vmcnt(9) lgkmcnt(2)
	v_mul_f64 v[4:5], v[230:231], v[168:169]
	v_mul_f64 v[6:7], v[228:229], v[168:169]
	;; [unrolled: 3-line block ×3, first 2 shown]
	v_fma_f64 v[160:161], v[215:216], v[162:163], -v[0:1]
	v_fma_f64 v[162:163], v[217:218], v[162:163], v[2:3]
	ds_read_b128 v[215:218], v209 offset:1136
	ds_read_b128 v[240:243], v209 offset:1376
	s_waitcnt vmcnt(7) lgkmcnt(2)
	v_mul_f64 v[0:1], v[238:239], v[176:177]
	v_mul_f64 v[2:3], v[236:237], v[176:177]
	v_fma_f64 v[164:165], v[228:229], v[166:167], -v[4:5]
	v_fma_f64 v[166:167], v[230:231], v[166:167], v[6:7]
	ds_read_b128 v[228:231], v209 offset:1616
	v_fma_f64 v[168:169], v[232:233], v[170:171], -v[8:9]
	v_fma_f64 v[170:171], v[234:235], v[170:171], v[10:11]
	ds_read_b128 v[232:235], v209 offset:1856
	s_waitcnt vmcnt(6) lgkmcnt(3)
	v_mul_f64 v[4:5], v[217:218], v[180:181]
	v_mul_f64 v[6:7], v[215:216], v[180:181]
	s_waitcnt vmcnt(5) lgkmcnt(2)
	v_mul_f64 v[8:9], v[242:243], v[184:185]
	v_mul_f64 v[10:11], v[240:241], v[184:185]
	v_fma_f64 v[172:173], v[236:237], v[174:175], -v[0:1]
	v_fma_f64 v[174:175], v[238:239], v[174:175], v[2:3]
	s_waitcnt vmcnt(4) lgkmcnt(1)
	v_mul_f64 v[0:1], v[230:231], v[188:189]
	v_mul_f64 v[2:3], v[228:229], v[188:189]
	v_fma_f64 v[176:177], v[215:216], v[178:179], -v[4:5]
	v_fma_f64 v[178:179], v[217:218], v[178:179], v[6:7]
	s_waitcnt vmcnt(3) lgkmcnt(0)
	v_mul_f64 v[4:5], v[234:235], v[192:193]
	v_mul_f64 v[6:7], v[232:233], v[192:193]
	ds_read_b128 v[215:218], v209 offset:2096
	ds_read_b128 v[236:239], v209 offset:2336
	v_fma_f64 v[180:181], v[240:241], v[182:183], -v[8:9]
	v_fma_f64 v[182:183], v[242:243], v[182:183], v[10:11]
	ds_read_b128 v[240:243], v209 offset:2576
	v_fma_f64 v[184:185], v[228:229], v[186:187], -v[0:1]
	v_fma_f64 v[186:187], v[230:231], v[186:187], v[2:3]
	s_waitcnt vmcnt(2) lgkmcnt(2)
	v_mul_f64 v[0:1], v[217:218], v[196:197]
	v_mul_f64 v[2:3], v[215:216], v[196:197]
	s_waitcnt vmcnt(1) lgkmcnt(1)
	v_mul_f64 v[8:9], v[238:239], v[200:201]
	v_mul_f64 v[10:11], v[236:237], v[200:201]
	v_fma_f64 v[188:189], v[232:233], v[190:191], -v[4:5]
	v_fma_f64 v[190:191], v[234:235], v[190:191], v[6:7]
	s_waitcnt vmcnt(0) lgkmcnt(0)
	v_mul_f64 v[4:5], v[242:243], v[213:214]
	v_mul_f64 v[6:7], v[240:241], v[213:214]
	v_fma_f64 v[192:193], v[215:216], v[194:195], -v[0:1]
	v_fma_f64 v[194:195], v[217:218], v[194:195], v[2:3]
	v_fma_f64 v[196:197], v[236:237], v[198:199], -v[8:9]
	v_fma_f64 v[198:199], v[238:239], v[198:199], v[10:11]
	;; [unrolled: 2-line block ×3, first 2 shown]
	ds_write_b128 v209, v[160:163] offset:176
	ds_write_b128 v209, v[164:167] offset:416
	;; [unrolled: 1-line block ×11, first 2 shown]
.LBB0_9:
	s_or_b32 exec_lo, exec_lo, s1
	s_waitcnt lgkmcnt(0)
	s_barrier
	buffer_gl0_inv
	ds_read_b128 v[160:163], v221
	ds_read_b128 v[200:203], v221 offset:240
	ds_read_b128 v[192:195], v221 offset:480
	;; [unrolled: 1-line block ×10, first 2 shown]
	s_and_saveexec_b32 s0, vcc_lo
	s_cbranch_execz .LBB0_11
; %bb.10:
	ds_read_b128 v[144:147], v209 offset:176
	ds_read_b128 v[156:159], v209 offset:416
	;; [unrolled: 1-line block ×10, first 2 shown]
	s_waitcnt lgkmcnt(0)
	buffer_store_dword v0, off, s[40:43], 0 offset:32 ; 4-byte Folded Spill
	buffer_store_dword v1, off, s[40:43], 0 offset:36 ; 4-byte Folded Spill
	;; [unrolled: 1-line block ×4, first 2 shown]
	ds_read_b128 v[0:3], v209 offset:2576
	s_waitcnt lgkmcnt(0)
	buffer_store_dword v0, off, s[40:43], 0 offset:16 ; 4-byte Folded Spill
	buffer_store_dword v1, off, s[40:43], 0 offset:20 ; 4-byte Folded Spill
	;; [unrolled: 1-line block ×4, first 2 shown]
.LBB0_11:
	s_or_b32 exec_lo, exec_lo, s0
	s_waitcnt lgkmcnt(9)
	v_add_f64 v[0:1], v[160:161], v[200:201]
	v_add_f64 v[2:3], v[162:163], v[202:203]
	s_waitcnt lgkmcnt(0)
	v_add_f64 v[10:11], v[202:203], -v[166:167]
	s_mov_b32 s18, 0xf8bb580b
	s_mov_b32 s24, 0x8eee2c13
	;; [unrolled: 1-line block ×10, first 2 shown]
	v_add_f64 v[4:5], v[200:201], v[164:165]
	v_add_f64 v[6:7], v[202:203], v[166:167]
	v_add_f64 v[8:9], v[200:201], -v[164:165]
	v_add_f64 v[12:13], v[192:193], v[176:177]
	v_add_f64 v[14:15], v[194:195], v[178:179]
	v_add_f64 v[16:17], v[192:193], -v[176:177]
	v_add_f64 v[18:19], v[194:195], -v[178:179]
	v_add_f64 v[202:203], v[170:171], v[174:175]
	s_mov_b32 s0, 0x8764f0ba
	v_add_f64 v[0:1], v[0:1], v[192:193]
	v_add_f64 v[2:3], v[2:3], v[194:195]
	;; [unrolled: 1-line block ×4, first 2 shown]
	v_mul_f64 v[200:201], v[10:11], s[24:25]
	s_mov_b32 s2, 0xd9c712b6
	s_mov_b32 s20, 0x640f44db
	;; [unrolled: 1-line block ×9, first 2 shown]
	v_add_f64 v[206:207], v[168:169], v[172:173]
	v_add_f64 v[211:212], v[168:169], -v[172:173]
	s_mov_b32 s27, 0x3fe14ced
	s_mov_b32 s29, 0x3fed1bb4
	;; [unrolled: 1-line block ×6, first 2 shown]
	v_add_f64 v[0:1], v[0:1], v[188:189]
	v_add_f64 v[2:3], v[2:3], v[190:191]
	v_add_f64 v[188:189], v[188:189], -v[196:197]
	v_add_f64 v[190:191], v[190:191], -v[198:199]
	v_fma_f64 v[215:216], v[4:5], s[2:3], v[200:201]
	v_fma_f64 v[200:201], v[4:5], s[2:3], -v[200:201]
	s_mov_b32 s36, s14
	s_mov_b32 s34, s16
	v_mul_f64 v[242:243], v[194:195], s[20:21]
	v_mul_f64 v[250:251], v[194:195], s[12:13]
	;; [unrolled: 1-line block ×4, first 2 shown]
	s_waitcnt_vscnt null, 0x0
	s_barrier
	buffer_gl0_inv
	v_add_f64 v[0:1], v[0:1], v[180:181]
	v_add_f64 v[2:3], v[2:3], v[182:183]
	v_mul_f64 v[240:241], v[190:191], s[22:23]
	v_add_f64 v[215:216], v[160:161], v[215:216]
	v_add_f64 v[200:201], v[160:161], v[200:201]
	v_mul_f64 v[42:43], v[190:191], s[18:19]
	v_fma_f64 v[26:27], v[12:13], s[12:13], v[24:25]
	v_fma_f64 v[30:31], v[188:189], s[24:25], v[28:29]
	v_fma_f64 v[24:25], v[12:13], s[12:13], -v[24:25]
	v_fma_f64 v[28:29], v[188:189], s[28:29], v[28:29]
	v_add_f64 v[0:1], v[0:1], v[168:169]
	v_add_f64 v[2:3], v[2:3], v[170:171]
	v_mul_f64 v[168:169], v[6:7], s[0:1]
	v_add_f64 v[0:1], v[0:1], v[172:173]
	v_add_f64 v[2:3], v[2:3], v[174:175]
	v_mul_f64 v[172:173], v[6:7], s[2:3]
	v_add_f64 v[0:1], v[0:1], v[184:185]
	v_add_f64 v[2:3], v[2:3], v[186:187]
	v_fma_f64 v[219:220], v[8:9], s[28:29], v[172:173]
	v_fma_f64 v[172:173], v[8:9], s[24:25], v[172:173]
	v_add_f64 v[0:1], v[0:1], v[196:197]
	v_add_f64 v[2:3], v[2:3], v[198:199]
	v_add_f64 v[196:197], v[182:183], v[186:187]
	v_add_f64 v[182:183], v[182:183], -v[186:187]
	v_add_f64 v[186:187], v[180:181], v[184:185]
	v_add_f64 v[180:181], v[180:181], -v[184:185]
	v_mul_f64 v[184:185], v[10:11], s[18:19]
	v_add_f64 v[198:199], v[170:171], -v[174:175]
	v_mul_f64 v[170:171], v[10:11], s[22:23]
	v_mul_f64 v[174:175], v[10:11], s[14:15]
	;; [unrolled: 1-line block ×3, first 2 shown]
	v_add_f64 v[219:220], v[162:163], v[219:220]
	v_add_f64 v[230:231], v[162:163], v[172:173]
	;; [unrolled: 1-line block ×4, first 2 shown]
	v_mul_f64 v[176:177], v[6:7], s[20:21]
	v_mul_f64 v[178:179], v[6:7], s[4:5]
	;; [unrolled: 1-line block ×4, first 2 shown]
	v_fma_f64 v[213:214], v[4:5], s[0:1], v[184:185]
	v_fma_f64 v[184:185], v[4:5], s[0:1], -v[184:185]
	v_mul_f64 v[246:247], v[196:197], s[4:5]
	v_mul_f64 v[248:249], v[198:199], s[16:17]
	v_fma_f64 v[217:218], v[4:5], s[12:13], v[10:11]
	v_mul_f64 v[252:253], v[182:183], s[30:31]
	v_mul_f64 v[20:21], v[198:199], s[26:27]
	;; [unrolled: 1-line block ×5, first 2 shown]
	v_add_f64 v[164:165], v[0:1], v[164:165]
	v_add_f64 v[166:167], v[2:3], v[166:167]
	v_fma_f64 v[0:1], v[4:5], s[20:21], v[170:171]
	v_fma_f64 v[2:3], v[4:5], s[20:21], -v[170:171]
	v_fma_f64 v[170:171], v[4:5], s[4:5], v[174:175]
	v_fma_f64 v[174:175], v[4:5], s[4:5], -v[174:175]
	v_fma_f64 v[4:5], v[4:5], s[12:13], -v[10:11]
	v_fma_f64 v[10:11], v[8:9], s[26:27], v[168:169]
	v_fma_f64 v[168:169], v[8:9], s[18:19], v[168:169]
	;; [unrolled: 1-line block ×8, first 2 shown]
	v_add_f64 v[8:9], v[160:161], v[213:214]
	v_add_f64 v[184:185], v[160:161], v[184:185]
	;; [unrolled: 1-line block ×3, first 2 shown]
	v_fma_f64 v[22:23], v[206:207], s[0:1], v[20:21]
	v_fma_f64 v[34:35], v[186:187], s[0:1], v[32:33]
	v_fma_f64 v[38:39], v[206:207], s[4:5], v[36:37]
	v_fma_f64 v[32:33], v[186:187], s[0:1], -v[32:33]
	v_fma_f64 v[36:37], v[206:207], s[4:5], -v[36:37]
	;; [unrolled: 1-line block ×3, first 2 shown]
	v_add_f64 v[0:1], v[160:161], v[0:1]
	v_add_f64 v[2:3], v[160:161], v[2:3]
	;; [unrolled: 1-line block ×5, first 2 shown]
	v_mul_f64 v[160:161], v[18:19], s[24:25]
	v_add_f64 v[10:11], v[162:163], v[10:11]
	v_add_f64 v[213:214], v[162:163], v[168:169]
	;; [unrolled: 1-line block ×9, first 2 shown]
	v_mul_f64 v[26:27], v[14:15], s[12:13]
	v_add_f64 v[2:3], v[24:25], v[2:3]
	v_fma_f64 v[162:163], v[12:13], s[2:3], v[160:161]
	v_fma_f64 v[160:161], v[12:13], s[2:3], -v[160:161]
	v_add_f64 v[8:9], v[162:163], v[8:9]
	v_mul_f64 v[162:163], v[14:15], s[2:3]
	v_add_f64 v[160:161], v[160:161], v[184:185]
	v_fma_f64 v[168:169], v[16:17], s[28:29], v[162:163]
	v_add_f64 v[10:11], v[168:169], v[10:11]
	v_fma_f64 v[168:169], v[192:193], s[20:21], v[240:241]
	;; [unrolled: 2-line block ×6, first 2 shown]
	v_add_f64 v[168:169], v[168:169], v[8:9]
	v_mul_f64 v[8:9], v[202:203], s[12:13]
	v_fma_f64 v[170:171], v[211:212], s[34:35], v[8:9]
	v_fma_f64 v[8:9], v[211:212], s[16:17], v[8:9]
	v_add_f64 v[170:171], v[170:171], v[10:11]
	v_mul_f64 v[10:11], v[18:19], s[14:15]
	v_fma_f64 v[172:173], v[12:13], s[4:5], v[10:11]
	v_fma_f64 v[10:11], v[12:13], s[4:5], -v[10:11]
	v_add_f64 v[172:173], v[172:173], v[215:216]
	v_mul_f64 v[215:216], v[14:15], s[4:5]
	v_add_f64 v[10:11], v[10:11], v[200:201]
	v_fma_f64 v[174:175], v[16:17], s[36:37], v[215:216]
	v_add_f64 v[174:175], v[174:175], v[219:220]
	v_mul_f64 v[219:220], v[190:191], s[34:35]
	v_fma_f64 v[176:177], v[192:193], s[12:13], v[219:220]
	v_add_f64 v[172:173], v[176:177], v[172:173]
	v_fma_f64 v[176:177], v[188:189], s[16:17], v[250:251]
	v_add_f64 v[174:175], v[176:177], v[174:175]
	;; [unrolled: 2-line block ×4, first 2 shown]
	v_mul_f64 v[22:23], v[202:203], s[0:1]
	v_add_f64 v[174:175], v[176:177], v[174:175]
	v_fma_f64 v[176:177], v[211:212], s[18:19], v[22:23]
	v_fma_f64 v[22:23], v[211:212], s[26:27], v[22:23]
	v_add_f64 v[174:175], v[176:177], v[174:175]
	v_fma_f64 v[176:177], v[16:17], s[16:17], v[26:27]
	v_fma_f64 v[26:27], v[16:17], s[34:35], v[26:27]
	v_add_f64 v[176:177], v[176:177], v[222:223]
	v_mul_f64 v[222:223], v[190:191], s[28:29]
	v_mul_f64 v[190:191], v[190:191], s[14:15]
	v_add_f64 v[24:25], v[26:27], v[232:233]
	v_add_f64 v[30:31], v[30:31], v[176:177]
	v_fma_f64 v[178:179], v[192:193], s[2:3], v[222:223]
	v_fma_f64 v[184:185], v[192:193], s[4:5], -v[190:191]
	v_add_f64 v[24:25], v[28:29], v[24:25]
	v_add_f64 v[0:1], v[178:179], v[0:1]
	;; [unrolled: 1-line block ×3, first 2 shown]
	v_mul_f64 v[34:35], v[196:197], s[0:1]
	v_fma_f64 v[176:177], v[180:181], s[26:27], v[34:35]
	v_fma_f64 v[34:35], v[180:181], s[18:19], v[34:35]
	v_add_f64 v[30:31], v[176:177], v[30:31]
	v_add_f64 v[176:177], v[38:39], v[0:1]
	v_mul_f64 v[0:1], v[202:203], s[4:5]
	v_add_f64 v[24:25], v[34:35], v[24:25]
	v_mul_f64 v[34:35], v[198:199], s[22:23]
	v_fma_f64 v[38:39], v[211:212], s[36:37], v[0:1]
	v_fma_f64 v[0:1], v[211:212], s[14:15], v[0:1]
	v_add_f64 v[178:179], v[38:39], v[30:31]
	v_mul_f64 v[30:31], v[18:19], s[30:31]
	v_mul_f64 v[18:19], v[18:19], s[26:27]
	v_fma_f64 v[38:39], v[12:13], s[20:21], v[30:31]
	v_fma_f64 v[30:31], v[12:13], s[20:21], -v[30:31]
	v_add_f64 v[38:39], v[38:39], v[234:235]
	v_mul_f64 v[234:235], v[14:15], s[20:21]
	v_mul_f64 v[14:15], v[14:15], s[0:1]
	v_add_f64 v[26:27], v[30:31], v[236:237]
	v_fma_f64 v[40:41], v[16:17], s[22:23], v[234:235]
	v_fma_f64 v[66:67], v[16:17], s[18:19], v[14:15]
	;; [unrolled: 1-line block ×3, first 2 shown]
	v_add_f64 v[40:41], v[40:41], v[224:225]
	v_fma_f64 v[224:225], v[192:193], s[0:1], v[42:43]
	v_add_f64 v[6:7], v[14:15], v[6:7]
	v_fma_f64 v[14:15], v[192:193], s[12:13], -v[219:220]
	v_fma_f64 v[42:43], v[192:193], s[0:1], -v[42:43]
	v_add_f64 v[66:67], v[66:67], v[228:229]
	v_add_f64 v[38:39], v[224:225], v[38:39]
	v_mul_f64 v[224:225], v[194:195], s[0:1]
	v_mul_f64 v[194:195], v[194:195], s[4:5]
	v_add_f64 v[10:11], v[14:15], v[10:11]
	v_add_f64 v[26:27], v[42:43], v[26:27]
	v_fma_f64 v[42:43], v[186:187], s[20:21], -v[252:253]
	v_fma_f64 v[60:61], v[188:189], s[26:27], v[224:225]
	v_fma_f64 v[200:201], v[188:189], s[18:19], v[224:225]
	v_add_f64 v[10:11], v[42:43], v[10:11]
	v_mul_f64 v[42:43], v[202:203], s[20:21]
	v_add_f64 v[40:41], v[60:61], v[40:41]
	v_mul_f64 v[60:61], v[182:183], s[16:17]
	v_fma_f64 v[62:63], v[186:187], s[12:13], v[60:61]
	v_fma_f64 v[60:61], v[186:187], s[12:13], -v[60:61]
	v_add_f64 v[38:39], v[62:63], v[38:39]
	v_mul_f64 v[62:63], v[196:197], s[12:13]
	v_add_f64 v[26:27], v[60:61], v[26:27]
	v_fma_f64 v[64:65], v[180:181], s[34:35], v[62:63]
	v_fma_f64 v[62:63], v[180:181], s[16:17], v[62:63]
	v_add_f64 v[40:41], v[64:65], v[40:41]
	v_fma_f64 v[64:65], v[12:13], s[0:1], v[18:19]
	v_fma_f64 v[12:13], v[12:13], s[0:1], -v[18:19]
	v_fma_f64 v[18:19], v[16:17], s[24:25], v[162:163]
	v_fma_f64 v[162:163], v[16:17], s[14:15], v[215:216]
	;; [unrolled: 1-line block ×3, first 2 shown]
	v_mul_f64 v[16:17], v[182:183], s[28:29]
	v_add_f64 v[64:65], v[64:65], v[217:218]
	v_fma_f64 v[217:218], v[192:193], s[4:5], v[190:191]
	v_add_f64 v[4:5], v[12:13], v[4:5]
	v_fma_f64 v[12:13], v[192:193], s[20:21], -v[240:241]
	v_add_f64 v[30:31], v[215:216], v[238:239]
	v_fma_f64 v[182:183], v[186:187], s[2:3], v[16:17]
	v_add_f64 v[162:163], v[162:163], v[230:231]
	v_fma_f64 v[190:191], v[188:189], s[22:23], v[242:243]
	v_add_f64 v[18:19], v[18:19], v[213:214]
	v_fma_f64 v[16:17], v[186:187], s[2:3], -v[16:17]
	v_add_f64 v[64:65], v[217:218], v[64:65]
	v_fma_f64 v[217:218], v[188:189], s[36:37], v[194:195]
	v_add_f64 v[12:13], v[12:13], v[160:161]
	v_add_f64 v[28:29], v[200:201], v[30:31]
	v_fma_f64 v[30:31], v[186:187], s[4:5], -v[244:245]
	v_add_f64 v[4:5], v[184:185], v[4:5]
	v_fma_f64 v[160:161], v[180:181], s[14:15], v[246:247]
	v_add_f64 v[18:19], v[190:191], v[18:19]
	v_add_f64 v[64:65], v[182:183], v[64:65]
	v_fma_f64 v[182:183], v[192:193], s[2:3], -v[222:223]
	v_fma_f64 v[192:193], v[188:189], s[34:35], v[250:251]
	v_fma_f64 v[188:189], v[188:189], s[14:15], v[194:195]
	v_mul_f64 v[194:195], v[196:197], s[2:3]
	v_add_f64 v[12:13], v[30:31], v[12:13]
	v_mul_f64 v[30:31], v[198:199], s[28:29]
	v_add_f64 v[66:67], v[217:218], v[66:67]
	v_add_f64 v[4:5], v[16:17], v[4:5]
	;; [unrolled: 1-line block ×3, first 2 shown]
	v_fma_f64 v[62:63], v[206:207], s[20:21], v[34:35]
	v_fma_f64 v[34:35], v[206:207], s[20:21], -v[34:35]
	v_add_f64 v[18:19], v[160:161], v[18:19]
	v_fma_f64 v[160:161], v[206:207], s[12:13], -v[248:249]
	v_add_f64 v[198:199], v[0:1], v[24:25]
	v_add_f64 v[2:3], v[182:183], v[2:3]
	;; [unrolled: 1-line block ×3, first 2 shown]
	v_fma_f64 v[162:163], v[180:181], s[30:31], v[254:255]
	v_fma_f64 v[196:197], v[180:181], s[24:25], v[194:195]
	v_add_f64 v[6:7], v[188:189], v[6:7]
	v_fma_f64 v[180:181], v[180:181], s[28:29], v[194:195]
	v_fma_f64 v[60:61], v[206:207], s[2:3], v[30:31]
	v_fma_f64 v[30:31], v[206:207], s[2:3], -v[30:31]
	v_add_f64 v[192:193], v[20:21], v[10:11]
	v_add_f64 v[184:185], v[62:63], v[64:65]
	;; [unrolled: 1-line block ×4, first 2 shown]
	v_add_nc_u32_e32 v161, 0x210, v221
	v_add_nc_u32_e32 v160, 0x2c0, v221
	v_add_f64 v[2:3], v[32:33], v[2:3]
	v_mul_f64 v[32:33], v[202:203], s[2:3]
	v_add_f64 v[14:15], v[162:163], v[14:15]
	v_add_f64 v[66:67], v[196:197], v[66:67]
	v_fma_f64 v[162:163], v[211:212], s[30:31], v[42:43]
	v_add_f64 v[6:7], v[180:181], v[6:7]
	v_fma_f64 v[42:43], v[211:212], s[22:23], v[42:43]
	v_add_f64 v[180:181], v[60:61], v[38:39]
	v_add_f64 v[200:201], v[30:31], v[26:27]
	;; [unrolled: 1-line block ×3, first 2 shown]
	v_fma_f64 v[16:17], v[211:212], s[24:25], v[32:33]
	v_fma_f64 v[32:33], v[211:212], s[28:29], v[32:33]
	v_add_f64 v[211:212], v[34:35], v[4:5]
	v_add_f64 v[186:187], v[162:163], v[66:67]
	;; [unrolled: 1-line block ×4, first 2 shown]
	v_add_nc_u32_e32 v162, 0x160, v221
	v_add_f64 v[182:183], v[16:17], v[40:41]
	v_add_f64 v[202:203], v[32:33], v[28:29]
	ds_write_b128 v227, v[164:167]
	ds_write_b128 v227, v[168:171] offset:16
	ds_write_b128 v227, v[172:175] offset:32
	;; [unrolled: 1-line block ×10, first 2 shown]
	s_and_saveexec_b32 s33, vcc_lo
	s_cbranch_execz .LBB0_13
; %bb.12:
	v_add_f64 v[0:1], v[146:147], v[158:159]
	v_add_f64 v[2:3], v[144:145], v[156:157]
	s_clause 0x3
	buffer_load_dword v60, off, s[40:43], 0 offset:16
	buffer_load_dword v61, off, s[40:43], 0 offset:20
	;; [unrolled: 1-line block ×4, first 2 shown]
	v_add_f64 v[10:11], v[72:73], -v[76:77]
	v_add_f64 v[18:19], v[74:75], -v[78:79]
	v_add_f64 v[26:27], v[74:75], v[78:79]
	v_add_f64 v[30:31], v[72:73], v[76:77]
	v_add_f64 v[12:13], v[152:153], -v[68:69]
	v_add_f64 v[8:9], v[80:81], -v[84:85]
	v_add_f64 v[14:15], v[82:83], v[86:87]
	v_add_f64 v[16:17], v[82:83], -v[86:87]
	v_add_f64 v[22:23], v[80:81], v[84:85]
	;; [unrolled: 2-line block ×3, first 2 shown]
	v_add_f64 v[0:1], v[0:1], v[150:151]
	v_add_f64 v[2:3], v[2:3], v[148:149]
	v_mul_f64 v[165:166], v[18:19], s[28:29]
	v_mul_f64 v[167:168], v[8:9], s[22:23]
	v_add_f64 v[0:1], v[0:1], v[154:155]
	v_add_f64 v[2:3], v[2:3], v[152:153]
	;; [unrolled: 1-line block ×4, first 2 shown]
	s_clause 0x3
	buffer_load_dword v72, off, s[40:43], 0 offset:32
	buffer_load_dword v73, off, s[40:43], 0 offset:36
	;; [unrolled: 1-line block ×4, first 2 shown]
	v_add_f64 v[0:1], v[0:1], v[82:83]
	v_add_f64 v[2:3], v[2:3], v[80:81]
	;; [unrolled: 1-line block ×9, first 2 shown]
	s_waitcnt vmcnt(4)
	v_add_f64 v[6:7], v[158:159], -v[62:63]
	v_add_f64 v[4:5], v[156:157], -v[60:61]
	v_add_f64 v[40:41], v[156:157], v[60:61]
	v_add_f64 v[20:21], v[158:159], v[62:63]
	v_mul_f64 v[68:69], v[6:7], s[24:25]
	v_mul_f64 v[24:25], v[4:5], s[16:17]
	;; [unrolled: 1-line block ×10, first 2 shown]
	v_fma_f64 v[70:71], v[20:21], s[12:13], v[24:25]
	v_fma_f64 v[86:87], v[40:41], s[4:5], -v[64:65]
	v_fma_f64 v[64:65], v[40:41], s[4:5], v[64:65]
	v_fma_f64 v[24:25], v[20:21], s[12:13], -v[24:25]
	;; [unrolled: 2-line block ×3, first 2 shown]
	s_waitcnt vmcnt(2)
	v_add_f64 v[78:79], v[148:149], -v[72:73]
	s_waitcnt vmcnt(0)
	v_add_f64 v[80:81], v[150:151], -v[74:75]
	v_add_f64 v[82:83], v[150:151], v[74:75]
	v_fma_f64 v[150:151], v[40:41], s[2:3], v[68:69]
	v_fma_f64 v[68:69], v[40:41], s[2:3], -v[68:69]
	v_add_f64 v[0:1], v[0:1], v[74:75]
	v_add_f64 v[2:3], v[2:3], v[72:73]
	;; [unrolled: 1-line block ×3, first 2 shown]
	v_fma_f64 v[72:73], v[20:21], s[4:5], v[28:29]
	v_fma_f64 v[28:29], v[20:21], s[4:5], -v[28:29]
	v_fma_f64 v[74:75], v[20:21], s[0:1], -v[4:5]
	v_fma_f64 v[4:5], v[20:21], s[0:1], v[4:5]
	v_fma_f64 v[148:149], v[40:41], s[20:21], -v[66:67]
	v_fma_f64 v[66:67], v[40:41], s[20:21], v[66:67]
	v_add_f64 v[154:155], v[144:145], v[64:65]
	v_add_f64 v[86:87], v[144:145], v[86:87]
	;; [unrolled: 1-line block ×7, first 2 shown]
	v_mul_f64 v[68:69], v[78:79], s[26:27]
	v_add_f64 v[62:63], v[0:1], v[62:63]
	v_add_f64 v[60:61], v[2:3], v[60:61]
	v_fma_f64 v[0:1], v[20:21], s[20:21], v[32:33]
	v_fma_f64 v[2:3], v[20:21], s[20:21], -v[32:33]
	v_fma_f64 v[32:33], v[20:21], s[2:3], -v[36:37]
	v_fma_f64 v[36:37], v[20:21], s[2:3], v[36:37]
	v_fma_f64 v[20:21], v[40:41], s[12:13], -v[42:43]
	v_fma_f64 v[42:43], v[40:41], s[12:13], v[42:43]
	v_add_f64 v[40:41], v[146:147], v[70:71]
	v_mul_f64 v[70:71], v[80:81], s[26:27]
	v_add_f64 v[158:159], v[146:147], v[74:75]
	v_mul_f64 v[74:75], v[12:13], s[14:15]
	v_add_f64 v[148:149], v[144:145], v[148:149]
	v_add_f64 v[156:157], v[144:145], v[66:67]
	;; [unrolled: 1-line block ×5, first 2 shown]
	v_fma_f64 v[64:65], v[82:83], s[0:1], v[68:69]
	v_add_f64 v[0:1], v[146:147], v[0:1]
	v_add_f64 v[2:3], v[146:147], v[2:3]
	;; [unrolled: 1-line block ×6, first 2 shown]
	v_mul_f64 v[144:145], v[34:35], s[14:15]
	v_mul_f64 v[146:147], v[10:11], s[28:29]
	v_add_f64 v[40:41], v[64:65], v[40:41]
	v_fma_f64 v[64:65], v[84:85], s[0:1], -v[70:71]
	v_add_f64 v[20:21], v[64:65], v[20:21]
	v_fma_f64 v[64:65], v[38:39], s[4:5], v[74:75]
	v_add_f64 v[40:41], v[64:65], v[40:41]
	v_fma_f64 v[64:65], v[76:77], s[4:5], -v[144:145]
	v_add_f64 v[20:21], v[64:65], v[20:21]
	v_fma_f64 v[64:65], v[26:27], s[2:3], v[146:147]
	;; [unrolled: 4-line block ×3, first 2 shown]
	v_add_f64 v[66:67], v[64:65], v[40:41]
	v_mul_f64 v[40:41], v[16:17], s[22:23]
	v_fma_f64 v[64:65], v[22:23], s[20:21], -v[40:41]
	v_fma_f64 v[40:41], v[22:23], s[20:21], v[40:41]
	v_add_f64 v[64:65], v[64:65], v[20:21]
	v_fma_f64 v[20:21], v[82:83], s[0:1], -v[68:69]
	v_add_f64 v[20:21], v[20:21], v[24:25]
	v_fma_f64 v[24:25], v[84:85], s[0:1], v[70:71]
	v_add_f64 v[24:25], v[24:25], v[42:43]
	v_fma_f64 v[42:43], v[38:39], s[4:5], -v[74:75]
	v_add_f64 v[20:21], v[42:43], v[20:21]
	v_fma_f64 v[42:43], v[76:77], s[4:5], v[144:145]
	v_mul_f64 v[144:145], v[34:35], s[18:19]
	v_add_f64 v[24:25], v[42:43], v[24:25]
	v_fma_f64 v[42:43], v[26:27], s[2:3], -v[146:147]
	v_mul_f64 v[146:147], v[10:11], s[16:17]
	v_add_f64 v[20:21], v[42:43], v[20:21]
	v_fma_f64 v[42:43], v[30:31], s[2:3], v[165:166]
	v_mul_f64 v[165:166], v[18:19], s[16:17]
	v_add_f64 v[24:25], v[42:43], v[24:25]
	v_fma_f64 v[42:43], v[14:15], s[20:21], -v[167:168]
	v_mul_f64 v[167:168], v[8:9], s[28:29]
	v_add_f64 v[68:69], v[40:41], v[24:25]
	v_mul_f64 v[40:41], v[80:81], s[30:31]
	v_add_f64 v[70:71], v[42:43], v[20:21]
	v_mul_f64 v[20:21], v[78:79], s[30:31]
	v_fma_f64 v[42:43], v[84:85], s[20:21], -v[40:41]
	v_fma_f64 v[24:25], v[82:83], s[20:21], v[20:21]
	v_fma_f64 v[20:21], v[82:83], s[20:21], -v[20:21]
	v_add_f64 v[42:43], v[42:43], v[86:87]
	v_mul_f64 v[86:87], v[12:13], s[18:19]
	v_add_f64 v[24:25], v[24:25], v[72:73]
	v_add_f64 v[20:21], v[20:21], v[28:29]
	v_fma_f64 v[28:29], v[84:85], s[20:21], v[40:41]
	v_mul_f64 v[40:41], v[78:79], s[34:35]
	v_fma_f64 v[72:73], v[38:39], s[0:1], v[86:87]
	v_fma_f64 v[86:87], v[38:39], s[0:1], -v[86:87]
	v_add_f64 v[28:29], v[28:29], v[154:155]
	v_add_f64 v[24:25], v[72:73], v[24:25]
	v_fma_f64 v[72:73], v[76:77], s[0:1], -v[144:145]
	v_add_f64 v[20:21], v[86:87], v[20:21]
	v_fma_f64 v[86:87], v[76:77], s[0:1], v[144:145]
	v_add_f64 v[42:43], v[72:73], v[42:43]
	v_fma_f64 v[72:73], v[26:27], s[12:13], v[146:147]
	v_add_f64 v[28:29], v[86:87], v[28:29]
	v_add_f64 v[24:25], v[72:73], v[24:25]
	v_fma_f64 v[72:73], v[30:31], s[12:13], -v[165:166]
	v_add_f64 v[42:43], v[72:73], v[42:43]
	v_fma_f64 v[72:73], v[14:15], s[2:3], v[167:168]
	v_add_f64 v[74:75], v[72:73], v[24:25]
	v_mul_f64 v[24:25], v[16:17], s[28:29]
	v_fma_f64 v[72:73], v[22:23], s[2:3], -v[24:25]
	v_fma_f64 v[24:25], v[22:23], s[2:3], v[24:25]
	v_add_f64 v[72:73], v[72:73], v[42:43]
	v_mul_f64 v[42:43], v[78:79], s[24:25]
	v_fma_f64 v[169:170], v[82:83], s[2:3], -v[42:43]
	v_add_f64 v[158:159], v[169:170], v[158:159]
	v_mul_f64 v[169:170], v[80:81], s[24:25]
	v_fma_f64 v[171:172], v[84:85], s[2:3], v[169:170]
	v_add_f64 v[152:153], v[171:172], v[152:153]
	v_mul_f64 v[171:172], v[78:79], s[14:15]
	v_fma_f64 v[78:79], v[82:83], s[12:13], v[40:41]
	v_fma_f64 v[40:41], v[82:83], s[12:13], -v[40:41]
	v_fma_f64 v[173:174], v[82:83], s[4:5], -v[171:172]
	v_add_f64 v[0:1], v[78:79], v[0:1]
	v_mul_f64 v[78:79], v[12:13], s[22:23]
	v_add_f64 v[2:3], v[40:41], v[2:3]
	v_fma_f64 v[40:41], v[26:27], s[12:13], -v[146:147]
	v_add_f64 v[32:33], v[173:174], v[32:33]
	v_mul_f64 v[173:174], v[80:81], s[14:15]
	v_fma_f64 v[154:155], v[38:39], s[20:21], -v[78:79]
	v_mul_f64 v[80:81], v[80:81], s[34:35]
	v_add_f64 v[20:21], v[40:41], v[20:21]
	v_fma_f64 v[175:176], v[84:85], s[4:5], v[173:174]
	v_add_f64 v[154:155], v[154:155], v[158:159]
	v_mul_f64 v[158:159], v[34:35], s[22:23]
	v_fma_f64 v[40:41], v[84:85], s[12:13], v[80:81]
	v_add_f64 v[150:151], v[175:176], v[150:151]
	v_fma_f64 v[175:176], v[76:77], s[20:21], v[158:159]
	v_add_f64 v[40:41], v[40:41], v[156:157]
	v_add_f64 v[152:153], v[175:176], v[152:153]
	v_mul_f64 v[175:176], v[12:13], s[34:35]
	v_mul_f64 v[12:13], v[12:13], s[28:29]
	v_fma_f64 v[177:178], v[38:39], s[12:13], -v[175:176]
	v_fma_f64 v[86:87], v[38:39], s[2:3], v[12:13]
	v_fma_f64 v[12:13], v[38:39], s[2:3], -v[12:13]
	v_add_f64 v[32:33], v[177:178], v[32:33]
	v_mul_f64 v[177:178], v[34:35], s[34:35]
	v_mul_f64 v[34:35], v[34:35], s[28:29]
	v_add_f64 v[0:1], v[86:87], v[0:1]
	v_add_f64 v[2:3], v[12:13], v[2:3]
	v_fma_f64 v[179:180], v[76:77], s[12:13], v[177:178]
	v_fma_f64 v[86:87], v[76:77], s[2:3], -v[34:35]
	v_fma_f64 v[12:13], v[76:77], s[2:3], v[34:35]
	v_fma_f64 v[34:35], v[82:83], s[4:5], v[171:172]
	v_add_f64 v[150:151], v[179:180], v[150:151]
	v_mul_f64 v[179:180], v[10:11], s[14:15]
	v_add_f64 v[12:13], v[12:13], v[40:41]
	v_fma_f64 v[40:41], v[82:83], s[2:3], v[42:43]
	v_fma_f64 v[42:43], v[84:85], s[4:5], -v[173:174]
	v_add_f64 v[34:35], v[34:35], v[36:37]
	v_fma_f64 v[181:182], v[26:27], s[4:5], -v[179:180]
	v_add_f64 v[4:5], v[40:41], v[4:5]
	v_add_f64 v[36:37], v[42:43], v[163:164]
	v_fma_f64 v[42:43], v[38:39], s[12:13], v[175:176]
	v_fma_f64 v[38:39], v[38:39], s[20:21], v[78:79]
	v_fma_f64 v[40:41], v[76:77], s[12:13], -v[177:178]
	v_fma_f64 v[76:77], v[76:77], s[20:21], -v[158:159]
	v_mul_f64 v[78:79], v[8:9], s[26:27]
	v_add_f64 v[154:155], v[181:182], v[154:155]
	v_mul_f64 v[181:182], v[18:19], s[14:15]
	v_add_f64 v[34:35], v[42:43], v[34:35]
	v_add_f64 v[4:5], v[38:39], v[4:5]
	;; [unrolled: 1-line block ×3, first 2 shown]
	v_mul_f64 v[38:39], v[8:9], s[16:17]
	v_mul_f64 v[8:9], v[8:9], s[14:15]
	v_fma_f64 v[158:159], v[14:15], s[0:1], v[78:79]
	v_fma_f64 v[183:184], v[30:31], s[4:5], v[181:182]
	v_fma_f64 v[156:157], v[14:15], s[4:5], v[8:9]
	v_fma_f64 v[8:9], v[14:15], s[4:5], -v[8:9]
	v_add_f64 v[152:153], v[183:184], v[152:153]
	v_mul_f64 v[183:184], v[10:11], s[30:31]
	v_mul_f64 v[10:11], v[10:11], s[18:19]
	v_fma_f64 v[185:186], v[26:27], s[20:21], -v[183:184]
	v_fma_f64 v[40:41], v[26:27], s[20:21], v[183:184]
	v_add_f64 v[32:33], v[185:186], v[32:33]
	v_mul_f64 v[185:186], v[18:19], s[30:31]
	v_mul_f64 v[18:19], v[18:19], s[18:19]
	v_add_f64 v[34:35], v[40:41], v[34:35]
	v_fma_f64 v[40:41], v[14:15], s[0:1], -v[78:79]
	v_fma_f64 v[187:188], v[30:31], s[20:21], v[185:186]
	v_fma_f64 v[42:43], v[30:31], s[20:21], -v[185:186]
	v_add_f64 v[82:83], v[40:41], v[32:33]
	v_add_f64 v[150:151], v[187:188], v[150:151]
	v_fma_f64 v[187:188], v[84:85], s[12:13], -v[80:81]
	v_fma_f64 v[80:81], v[30:31], s[12:13], v[165:166]
	v_add_f64 v[36:37], v[42:43], v[36:37]
	v_fma_f64 v[42:43], v[14:15], s[2:3], -v[167:168]
	v_add_f64 v[148:149], v[187:188], v[148:149]
	v_add_f64 v[28:29], v[80:81], v[28:29]
	v_fma_f64 v[80:81], v[26:27], s[0:1], v[10:11]
	v_fma_f64 v[10:11], v[26:27], s[0:1], -v[10:11]
	v_fma_f64 v[26:27], v[26:27], s[4:5], v[179:180]
	v_add_f64 v[86:87], v[86:87], v[148:149]
	v_add_f64 v[0:1], v[80:81], v[0:1]
	v_fma_f64 v[80:81], v[30:31], s[0:1], -v[18:19]
	v_fma_f64 v[18:19], v[30:31], s[0:1], v[18:19]
	v_add_f64 v[2:3], v[10:11], v[2:3]
	v_mul_f64 v[10:11], v[16:17], s[14:15]
	v_fma_f64 v[30:31], v[30:31], s[4:5], -v[181:182]
	v_add_f64 v[4:5], v[26:27], v[4:5]
	v_add_f64 v[148:149], v[80:81], v[86:87]
	v_fma_f64 v[80:81], v[84:85], s[2:3], -v[169:170]
	v_add_f64 v[12:13], v[18:19], v[12:13]
	v_fma_f64 v[18:19], v[14:15], s[12:13], -v[38:39]
	v_fma_f64 v[14:15], v[14:15], s[12:13], v[38:39]
	v_fma_f64 v[26:27], v[22:23], s[4:5], v[10:11]
	v_fma_f64 v[10:11], v[22:23], s[4:5], -v[10:11]
	v_add_f64 v[146:147], v[8:9], v[2:3]
	v_add_f64 v[86:87], v[42:43], v[20:21]
	v_add_f64 v[84:85], v[24:25], v[28:29]
	v_add_f64 v[6:7], v[80:81], v[6:7]
	v_add_f64 v[78:79], v[18:19], v[154:155]
	v_add_f64 v[154:155], v[158:159], v[34:35]
	v_add_f64 v[144:145], v[26:27], v[12:13]
	v_add_f64 v[148:149], v[10:11], v[148:149]
	v_add_f64 v[158:159], v[14:15], v[4:5]
	v_add_f64 v[6:7], v[76:77], v[6:7]
	v_mul_f64 v[76:77], v[16:17], s[26:27]
	v_mul_f64 v[16:17], v[16:17], s[16:17]
	v_add_f64 v[6:7], v[30:31], v[6:7]
	v_fma_f64 v[38:39], v[22:23], s[0:1], v[76:77]
	v_fma_f64 v[163:164], v[22:23], s[0:1], -v[76:77]
	v_fma_f64 v[76:77], v[22:23], s[12:13], v[16:17]
	v_fma_f64 v[16:17], v[22:23], s[12:13], -v[16:17]
	v_add_f64 v[80:81], v[38:39], v[150:151]
	v_add_f64 v[150:151], v[156:157], v[0:1]
	buffer_load_dword v0, off, s[40:43], 0 offset:12 ; 4-byte Folded Reload
	v_add_f64 v[76:77], v[76:77], v[152:153]
	v_add_f64 v[152:153], v[163:164], v[36:37]
	;; [unrolled: 1-line block ×3, first 2 shown]
	s_waitcnt vmcnt(0)
	v_lshl_add_u32 v0, v226, 4, v0
	ds_write_b128 v0, v[60:63]
	ds_write_b128 v0, v[76:79] offset:16
	ds_write_b128 v0, v[80:83] offset:32
	;; [unrolled: 1-line block ×10, first 2 shown]
.LBB0_13:
	s_or_b32 exec_lo, exec_lo, s33
	s_waitcnt lgkmcnt(0)
	s_barrier
	buffer_gl0_inv
	ds_read_b128 v[60:63], v221 offset:1056
	ds_read_b128 v[64:67], v221 offset:1584
	ds_read_b128 v[68:71], v221 offset:528
	ds_read_b128 v[72:75], v221 offset:2112
	ds_read_b128 v[76:79], v221
	ds_read_b128 v[80:83], v221 offset:176
	ds_read_b128 v[84:87], v221 offset:1232
	;; [unrolled: 1-line block ×10, first 2 shown]
	s_mov_b32 s4, 0x134454ff
	s_mov_b32 s5, 0xbfee6f0e
	;; [unrolled: 1-line block ×8, first 2 shown]
	s_waitcnt lgkmcnt(14)
	v_mul_f64 v[0:1], v[54:55], v[62:63]
	s_waitcnt lgkmcnt(13)
	v_mul_f64 v[2:3], v[50:51], v[66:67]
	v_mul_f64 v[8:9], v[54:55], v[60:61]
	v_mul_f64 v[10:11], v[50:51], v[64:65]
	s_waitcnt lgkmcnt(12)
	v_mul_f64 v[4:5], v[58:59], v[70:71]
	s_waitcnt lgkmcnt(11)
	v_mul_f64 v[6:7], v[46:47], v[74:75]
	v_mul_f64 v[12:13], v[58:59], v[68:69]
	v_mul_f64 v[14:15], v[46:47], v[72:73]
	;; [unrolled: 6-line block ×3, first 2 shown]
	v_mul_f64 v[22:23], v[54:55], v[84:85]
	v_mul_f64 v[26:27], v[50:51], v[167:168]
	;; [unrolled: 1-line block ×4, first 2 shown]
	s_waitcnt lgkmcnt(0)
	v_mul_f64 v[46:47], v[98:99], v[177:178]
	v_mul_f64 v[54:55], v[98:99], v[175:176]
	;; [unrolled: 1-line block ×6, first 2 shown]
	v_fma_f64 v[0:1], v[52:53], v[60:61], v[0:1]
	v_fma_f64 v[2:3], v[48:49], v[64:65], v[2:3]
	v_fma_f64 v[8:9], v[52:53], v[62:63], -v[8:9]
	v_fma_f64 v[10:11], v[48:49], v[66:67], -v[10:11]
	v_fma_f64 v[4:5], v[56:57], v[68:69], v[4:5]
	v_fma_f64 v[6:7], v[44:45], v[72:73], v[6:7]
	v_fma_f64 v[12:13], v[56:57], v[70:71], -v[12:13]
	v_fma_f64 v[14:15], v[44:45], v[74:75], -v[14:15]
	v_fma_f64 v[20:21], v[52:53], v[84:85], v[20:21]
	v_fma_f64 v[24:25], v[48:49], v[167:168], v[24:25]
	v_fma_f64 v[16:17], v[56:57], v[156:157], v[16:17]
	v_fma_f64 v[18:19], v[56:57], v[158:159], -v[18:19]
	v_fma_f64 v[22:23], v[52:53], v[86:87], -v[22:23]
	;; [unrolled: 1-line block ×3, first 2 shown]
	v_fma_f64 v[28:29], v[44:45], v[144:145], v[28:29]
	v_fma_f64 v[30:31], v[44:45], v[146:147], -v[30:31]
	v_mul_f64 v[32:33], v[106:107], v[165:166]
	v_mul_f64 v[34:35], v[106:107], v[163:164]
	v_fma_f64 v[84:85], v[96:97], v[175:176], v[46:47]
	v_fma_f64 v[86:87], v[96:97], v[177:178], -v[54:55]
	v_fma_f64 v[36:37], v[100:101], v[152:153], v[36:37]
	v_fma_f64 v[38:39], v[100:101], v[154:155], -v[38:39]
	v_fma_f64 v[40:41], v[108:109], v[171:172], v[40:41]
	v_add_f64 v[50:51], v[0:1], v[2:3]
	v_add_f64 v[70:71], v[0:1], -v[2:3]
	v_add_f64 v[60:61], v[8:9], v[10:11]
	v_add_f64 v[44:45], v[76:77], v[4:5]
	;; [unrolled: 1-line block ×4, first 2 shown]
	v_add_f64 v[48:49], v[12:13], -v[14:15]
	v_add_f64 v[56:57], v[12:13], v[14:15]
	v_add_f64 v[64:65], v[4:5], -v[6:7]
	v_add_f64 v[62:63], v[8:9], -v[10:11]
	v_add_f64 v[66:67], v[20:21], v[24:25]
	v_add_f64 v[46:47], v[4:5], -v[0:1]
	v_add_f64 v[4:5], v[0:1], -v[4:5]
	;; [unrolled: 1-line block ×7, first 2 shown]
	v_fma_f64 v[42:43], v[108:109], v[173:174], -v[42:43]
	v_add_f64 v[98:99], v[80:81], v[16:17]
	v_fma_f64 v[32:33], v[104:105], v[163:164], v[32:33]
	v_fma_f64 v[34:35], v[104:105], v[165:166], -v[34:35]
	v_fma_f64 v[50:51], v[50:51], -0.5, v[76:77]
	v_add_f64 v[100:101], v[18:19], -v[30:31]
	v_fma_f64 v[60:61], v[60:61], -0.5, v[78:79]
	v_add_f64 v[0:1], v[44:45], v[0:1]
	v_fma_f64 v[58:59], v[58:59], -0.5, v[76:77]
	v_add_f64 v[8:9], v[52:53], v[8:9]
	v_add_f64 v[76:77], v[16:17], v[28:29]
	v_fma_f64 v[44:45], v[56:57], -0.5, v[78:79]
	v_add_f64 v[96:97], v[10:11], -v[14:15]
	v_add_f64 v[146:147], v[22:23], v[26:27]
	v_fma_f64 v[66:67], v[66:67], -0.5, v[80:81]
	v_add_f64 v[102:103], v[22:23], -v[26:27]
	v_add_f64 v[144:145], v[82:83], v[18:19]
	v_add_f64 v[104:105], v[16:17], -v[20:21]
	v_add_f64 v[106:107], v[28:29], -v[24:25]
	v_add_f64 v[54:55], v[46:47], v[54:55]
	v_add_f64 v[4:5], v[4:5], v[68:69]
	;; [unrolled: 1-line block ×7, first 2 shown]
	v_fma_f64 v[52:53], v[48:49], s[4:5], v[50:51]
	v_fma_f64 v[50:51], v[48:49], s[14:15], v[50:51]
	;; [unrolled: 1-line block ×6, first 2 shown]
	v_add_f64 v[0:1], v[0:1], v[2:3]
	v_add_f64 v[2:3], v[8:9], v[10:11]
	v_fma_f64 v[8:9], v[70:71], s[4:5], v[44:45]
	v_fma_f64 v[76:77], v[76:77], -0.5, v[80:81]
	v_add_f64 v[156:157], v[34:35], v[86:87]
	v_fma_f64 v[80:81], v[100:101], s[4:5], v[66:67]
	v_add_f64 v[108:109], v[20:21], -v[16:17]
	v_add_f64 v[16:17], v[16:17], -v[28:29]
	v_fma_f64 v[66:67], v[100:101], s[14:15], v[66:67]
	v_add_f64 v[12:13], v[12:13], v[96:97]
	v_fma_f64 v[96:97], v[146:147], -0.5, v[82:83]
	s_mov_b32 s0, 0x372fe950
	v_add_f64 v[110:111], v[24:25], -v[28:29]
	s_mov_b32 s1, 0x3fd3c6ef
	v_add_f64 v[146:147], v[84:85], -v[40:41]
	v_fma_f64 v[10:11], v[62:63], s[2:3], v[52:53]
	v_fma_f64 v[50:51], v[62:63], s[12:13], v[50:51]
	;; [unrolled: 1-line block ×3, first 2 shown]
	v_add_f64 v[78:79], v[18:19], v[30:31]
	v_fma_f64 v[72:73], v[70:71], s[2:3], v[60:61]
	v_fma_f64 v[56:57], v[48:49], s[2:3], v[56:57]
	;; [unrolled: 1-line block ×4, first 2 shown]
	v_add_f64 v[44:45], v[0:1], v[6:7]
	v_fma_f64 v[0:1], v[64:65], s[12:13], v[8:9]
	v_add_f64 v[6:7], v[20:21], -v[24:25]
	v_add_f64 v[20:21], v[148:149], v[32:33]
	v_fma_f64 v[158:159], v[102:103], s[14:15], v[76:77]
	v_add_f64 v[46:47], v[2:3], v[14:15]
	v_add_f64 v[14:15], v[104:105], v[106:107]
	v_fma_f64 v[66:67], v[102:103], s[12:13], v[66:67]
	v_add_f64 v[104:105], v[18:19], -v[22:23]
	v_add_f64 v[106:107], v[30:31], -v[26:27]
	;; [unrolled: 1-line block ×3, first 2 shown]
	s_barrier
	buffer_gl0_inv
	v_fma_f64 v[48:49], v[54:55], s[0:1], v[10:11]
	v_fma_f64 v[52:53], v[54:55], s[0:1], v[50:51]
	;; [unrolled: 1-line block ×3, first 2 shown]
	v_fma_f64 v[8:9], v[78:79], -0.5, v[82:83]
	v_fma_f64 v[54:55], v[68:69], s[0:1], v[72:73]
	v_add_f64 v[72:73], v[150:151], v[34:35]
	v_fma_f64 v[56:57], v[4:5], s[0:1], v[56:57]
	v_fma_f64 v[60:61], v[4:5], s[0:1], v[58:59]
	v_add_f64 v[4:5], v[74:75], v[24:25]
	v_fma_f64 v[24:25], v[98:99], -0.5, v[148:149]
	v_add_f64 v[58:59], v[34:35], -v[86:87]
	v_fma_f64 v[68:69], v[102:103], s[4:5], v[76:77]
	v_fma_f64 v[76:77], v[154:155], -0.5, v[150:151]
	v_add_f64 v[78:79], v[32:33], -v[84:85]
	v_fma_f64 v[2:3], v[64:65], s[2:3], v[70:71]
	v_add_f64 v[62:63], v[38:39], -v[42:43]
	v_fma_f64 v[64:65], v[152:153], -0.5, v[148:149]
	v_add_f64 v[82:83], v[36:37], -v[40:41]
	v_fma_f64 v[98:99], v[156:157], -0.5, v[150:151]
	v_fma_f64 v[10:11], v[102:103], s[2:3], v[80:81]
	v_add_f64 v[80:81], v[144:145], v[22:23]
	v_fma_f64 v[102:103], v[16:17], s[14:15], v[96:97]
	v_add_f64 v[74:75], v[108:109], v[110:111]
	v_fma_f64 v[96:97], v[16:17], s[4:5], v[96:97]
	v_add_f64 v[22:23], v[26:27], -v[30:31]
	v_fma_f64 v[108:109], v[6:7], s[4:5], v[8:9]
	v_fma_f64 v[8:9], v[6:7], s[14:15], v[8:9]
	v_add_f64 v[20:21], v[20:21], v[36:37]
	v_add_f64 v[72:73], v[72:73], v[38:39]
	v_add_f64 v[144:145], v[32:33], -v[36:37]
	v_add_f64 v[152:153], v[34:35], -v[38:39]
	;; [unrolled: 1-line block ×3, first 2 shown]
	v_fma_f64 v[110:111], v[58:59], s[4:5], v[24:25]
	v_add_f64 v[32:33], v[36:37], -v[32:33]
	v_add_f64 v[36:37], v[40:41], -v[84:85]
	v_fma_f64 v[150:151], v[78:79], s[14:15], v[76:77]
	v_add_f64 v[34:35], v[38:39], -v[34:35]
	v_add_f64 v[38:39], v[42:43], -v[86:87]
	v_fma_f64 v[148:149], v[62:63], s[14:15], v[64:65]
	v_fma_f64 v[64:65], v[62:63], s[4:5], v[64:65]
	;; [unrolled: 1-line block ×6, first 2 shown]
	v_add_f64 v[26:27], v[80:81], v[26:27]
	v_fma_f64 v[70:71], v[100:101], s[2:3], v[158:159]
	v_fma_f64 v[102:103], v[6:7], s[12:13], v[102:103]
	v_add_f64 v[104:105], v[104:105], v[106:107]
	v_fma_f64 v[6:7], v[6:7], s[2:3], v[96:97]
	v_fma_f64 v[96:97], v[16:17], s[12:13], v[108:109]
	;; [unrolled: 3-line block ×3, first 2 shown]
	v_add_f64 v[16:17], v[20:21], v[40:41]
	v_add_f64 v[42:43], v[72:73], v[42:43]
	v_fma_f64 v[20:21], v[62:63], s[2:3], v[110:111]
	v_add_f64 v[22:23], v[144:145], v[146:147]
	v_fma_f64 v[106:107], v[82:83], s[12:13], v[150:151]
	v_add_f64 v[144:145], v[152:153], v[154:155]
	v_add_f64 v[32:33], v[32:33], v[36:37]
	v_fma_f64 v[40:41], v[58:59], s[2:3], v[148:149]
	v_add_f64 v[34:35], v[34:35], v[38:39]
	v_fma_f64 v[110:111], v[78:79], s[12:13], v[156:157]
	v_fma_f64 v[36:37], v[58:59], s[12:13], v[64:65]
	;; [unrolled: 1-line block ×7, first 2 shown]
	v_add_f64 v[64:65], v[4:5], v[28:29]
	v_fma_f64 v[72:73], v[14:15], s[0:1], v[66:67]
	v_add_f64 v[66:67], v[26:27], v[30:31]
	v_fma_f64 v[68:69], v[14:15], s[0:1], v[10:11]
	v_fma_f64 v[76:77], v[74:75], s[0:1], v[70:71]
	;; [unrolled: 1-line block ×7, first 2 shown]
	v_add_f64 v[84:85], v[16:17], v[84:85]
	v_add_f64 v[86:87], v[42:43], v[86:87]
	v_fma_f64 v[96:97], v[22:23], s[0:1], v[20:21]
	v_fma_f64 v[98:99], v[144:145], s[0:1], v[106:107]
	;; [unrolled: 1-line block ×8, first 2 shown]
	ds_write_b128 v221, v[44:47]
	ds_write_b128 v221, v[48:51] offset:176
	ds_write_b128 v221, v[56:59] offset:352
	;; [unrolled: 1-line block ×14, first 2 shown]
	s_waitcnt lgkmcnt(0)
	s_barrier
	buffer_gl0_inv
	ds_read_b128 v[44:47], v221 offset:880
	ds_read_b128 v[48:51], v221 offset:1760
	;; [unrolled: 1-line block ×10, first 2 shown]
	s_mov_b32 s0, 0xe8584caa
	s_mov_b32 s1, 0xbfebb67a
	;; [unrolled: 1-line block ×4, first 2 shown]
	ds_read_b128 v[84:87], v221 offset:176
	s_waitcnt lgkmcnt(10)
	v_mul_f64 v[0:1], v[90:91], v[46:47]
	s_waitcnt lgkmcnt(9)
	v_mul_f64 v[2:3], v[94:95], v[50:51]
	v_mul_f64 v[4:5], v[90:91], v[44:45]
	v_mul_f64 v[6:7], v[94:95], v[48:49]
	s_waitcnt lgkmcnt(6)
	v_mul_f64 v[8:9], v[114:115], v[62:63]
	v_mul_f64 v[10:11], v[118:119], v[54:55]
	;; [unrolled: 1-line block ×4, first 2 shown]
	s_waitcnt lgkmcnt(5)
	v_mul_f64 v[16:17], v[126:127], v[66:67]
	v_mul_f64 v[18:19], v[126:127], v[64:65]
	s_waitcnt lgkmcnt(4)
	v_mul_f64 v[20:21], v[122:123], v[70:71]
	v_mul_f64 v[22:23], v[122:123], v[68:69]
	;; [unrolled: 3-line block ×3, first 2 shown]
	v_mul_f64 v[28:29], v[134:135], v[74:75]
	v_mul_f64 v[30:31], v[134:135], v[72:73]
	v_fma_f64 v[0:1], v[88:89], v[44:45], v[0:1]
	v_fma_f64 v[2:3], v[92:93], v[48:49], v[2:3]
	v_fma_f64 v[4:5], v[88:89], v[46:47], -v[4:5]
	ds_read_b128 v[44:47], v221 offset:2464
	v_fma_f64 v[6:7], v[92:93], v[50:51], -v[6:7]
	ds_read_b128 v[48:51], v221
	s_waitcnt lgkmcnt(3)
	v_mul_f64 v[34:35], v[142:143], v[82:83]
	v_mul_f64 v[40:41], v[142:143], v[80:81]
	v_fma_f64 v[8:9], v[112:113], v[60:61], v[8:9]
	v_fma_f64 v[10:11], v[116:117], v[52:53], v[10:11]
	v_fma_f64 v[12:13], v[112:113], v[62:63], -v[12:13]
	v_fma_f64 v[14:15], v[116:117], v[54:55], -v[14:15]
	v_fma_f64 v[16:17], v[124:125], v[64:65], v[16:17]
	v_fma_f64 v[18:19], v[124:125], v[66:67], -v[18:19]
	v_fma_f64 v[20:21], v[120:121], v[68:69], v[20:21]
	;; [unrolled: 2-line block ×4, first 2 shown]
	v_fma_f64 v[30:31], v[132:133], v[74:75], -v[30:31]
	v_add_f64 v[32:33], v[0:1], v[2:3]
	s_waitcnt lgkmcnt(1)
	v_mul_f64 v[38:39], v[130:131], v[46:47]
	v_mul_f64 v[42:43], v[130:131], v[44:45]
	v_add_f64 v[36:37], v[4:5], v[6:7]
	s_waitcnt lgkmcnt(0)
	v_add_f64 v[52:53], v[48:49], v[0:1]
	v_add_f64 v[54:55], v[4:5], -v[6:7]
	v_fma_f64 v[34:35], v[140:141], v[80:81], v[34:35]
	v_add_f64 v[4:5], v[50:51], v[4:5]
	v_add_f64 v[0:1], v[0:1], -v[2:3]
	v_fma_f64 v[40:41], v[140:141], v[82:83], -v[40:41]
	v_add_f64 v[70:71], v[8:9], v[10:11]
	v_add_f64 v[72:73], v[12:13], v[14:15]
	;; [unrolled: 1-line block ×3, first 2 shown]
	v_add_f64 v[8:9], v[8:9], -v[10:11]
	v_add_f64 v[74:75], v[18:19], v[22:23]
	v_add_f64 v[78:79], v[18:19], -v[22:23]
	v_add_f64 v[76:77], v[24:25], v[28:29]
	v_add_f64 v[88:89], v[26:27], -v[30:31]
	v_fma_f64 v[32:33], v[32:33], -0.5, v[48:49]
	v_fma_f64 v[38:39], v[128:129], v[44:45], v[38:39]
	v_fma_f64 v[42:43], v[128:129], v[46:47], -v[42:43]
	v_fma_f64 v[36:37], v[36:37], -0.5, v[50:51]
	v_add_f64 v[52:53], v[52:53], v[2:3]
	v_add_f64 v[2:3], v[16:17], v[20:21]
	ds_read_b128 v[44:47], v221 offset:352
	ds_read_b128 v[48:51], v221 offset:528
	v_add_f64 v[92:93], v[56:57], v[34:35]
	v_fma_f64 v[72:73], v[72:73], -0.5, v[86:87]
	v_add_f64 v[68:69], v[68:69], v[10:11]
	v_fma_f64 v[60:61], v[54:55], s[0:1], v[32:33]
	v_fma_f64 v[64:65], v[54:55], s[2:3], v[32:33]
	v_add_f64 v[32:33], v[26:27], v[30:31]
	v_add_f64 v[54:55], v[4:5], v[6:7]
	;; [unrolled: 1-line block ×3, first 2 shown]
	v_fma_f64 v[62:63], v[0:1], s[2:3], v[36:37]
	v_fma_f64 v[66:67], v[0:1], s[0:1], v[36:37]
	v_add_f64 v[0:1], v[40:41], v[42:43]
	v_add_f64 v[36:37], v[12:13], -v[14:15]
	v_add_f64 v[12:13], v[86:87], v[12:13]
	v_fma_f64 v[6:7], v[70:71], -0.5, v[84:85]
	s_waitcnt lgkmcnt(1)
	v_add_f64 v[10:11], v[44:45], v[16:17]
	v_add_f64 v[18:19], v[46:47], v[18:19]
	v_fma_f64 v[2:3], v[2:3], -0.5, v[44:45]
	v_fma_f64 v[80:81], v[74:75], -0.5, v[46:47]
	v_add_f64 v[16:17], v[16:17], -v[20:21]
	s_waitcnt lgkmcnt(0)
	v_add_f64 v[82:83], v[48:49], v[24:25]
	v_add_f64 v[26:27], v[50:51], v[26:27]
	v_fma_f64 v[86:87], v[76:77], -0.5, v[48:49]
	v_add_f64 v[24:25], v[24:25], -v[28:29]
	v_add_f64 v[94:95], v[40:41], -v[42:43]
	v_add_f64 v[40:41], v[58:59], v[40:41]
	v_add_f64 v[34:35], v[34:35], -v[38:39]
	v_fma_f64 v[46:47], v[8:9], s[2:3], v[72:73]
	v_fma_f64 v[32:33], v[32:33], -0.5, v[50:51]
	v_fma_f64 v[50:51], v[8:9], s[0:1], v[72:73]
	v_fma_f64 v[4:5], v[4:5], -0.5, v[56:57]
	v_add_f64 v[92:93], v[92:93], v[38:39]
	v_fma_f64 v[0:1], v[0:1], -0.5, v[58:59]
	v_add_f64 v[70:71], v[12:13], v[14:15]
	v_fma_f64 v[44:45], v[36:37], s[0:1], v[6:7]
	v_fma_f64 v[48:49], v[36:37], s[2:3], v[6:7]
	v_add_f64 v[56:57], v[10:11], v[20:21]
	v_add_f64 v[58:59], v[18:19], v[22:23]
	v_fma_f64 v[72:73], v[78:79], s[0:1], v[2:3]
	v_fma_f64 v[74:75], v[16:17], s[2:3], v[80:81]
	;; [unrolled: 1-line block ×4, first 2 shown]
	v_add_f64 v[80:81], v[82:83], v[28:29]
	v_add_f64 v[82:83], v[26:27], v[30:31]
	v_fma_f64 v[84:85], v[88:89], s[0:1], v[86:87]
	v_fma_f64 v[88:89], v[88:89], s[2:3], v[86:87]
	;; [unrolled: 1-line block ×6, first 2 shown]
	v_add_f64 v[94:95], v[40:41], v[42:43]
	v_fma_f64 v[98:99], v[34:35], s[2:3], v[0:1]
	v_fma_f64 v[102:103], v[34:35], s[0:1], v[0:1]
	ds_write_b128 v221, v[52:55]
	ds_write_b128 v209, v[60:63] offset:880
	ds_write_b128 v209, v[64:67] offset:1760
	;; [unrolled: 1-line block ×14, first 2 shown]
	s_waitcnt lgkmcnt(0)
	s_barrier
	buffer_gl0_inv
	ds_read_b128 v[44:47], v221
	ds_read_b128 v[48:51], v221 offset:240
	s_clause 0x8
	buffer_load_dword v6, off, s[40:43], 0 offset:180
	buffer_load_dword v7, off, s[40:43], 0 offset:184
	;; [unrolled: 1-line block ×4, first 2 shown]
	buffer_load_dword v14, off, s[40:43], 0
	buffer_load_dword v15, off, s[40:43], 0 offset:148
	buffer_load_dword v16, off, s[40:43], 0 offset:152
	;; [unrolled: 1-line block ×4, first 2 shown]
	ds_read_b128 v[32:35], v221 offset:480
	ds_read_b128 v[52:55], v221 offset:720
	v_mad_u64_u32 v[4:5], null, s10, v208, 0
	s_mov_b32 s2, 0x8d3018d3
	s_mov_b32 s3, 0x3f78d301
	s_mul_hi_u32 s1, s8, 15
	s_waitcnt vmcnt(5) lgkmcnt(3)
	v_mul_f64 v[0:1], v[8:9], v[46:47]
	v_mul_f64 v[2:3], v[8:9], v[44:45]
	s_waitcnt vmcnt(0) lgkmcnt(2)
	v_mul_f64 v[8:9], v[17:18], v[50:51]
	v_mul_f64 v[10:11], v[17:18], v[48:49]
	s_clause 0x3
	buffer_load_dword v17, off, s[40:43], 0 offset:164
	buffer_load_dword v18, off, s[40:43], 0 offset:168
	;; [unrolled: 1-line block ×4, first 2 shown]
	v_fma_f64 v[0:1], v[6:7], v[44:45], v[0:1]
	v_fma_f64 v[2:3], v[6:7], v[46:47], -v[2:3]
	v_mad_u64_u32 v[6:7], null, s8, v14, 0
	v_fma_f64 v[10:11], v[15:16], v[50:51], -v[10:11]
	v_mad_u64_u32 v[12:13], null, s11, v208, v[5:6]
	v_mad_u64_u32 v[13:14], null, s9, v14, v[7:8]
	v_mov_b32_e32 v5, v12
	v_mov_b32_e32 v7, v13
	v_mul_f64 v[44:45], v[0:1], s[2:3]
	v_mul_f64 v[46:47], v[2:3], s[2:3]
	v_fma_f64 v[2:3], v[15:16], v[48:49], v[8:9]
	v_lshlrev_b64 v[4:5], 4, v[4:5]
	v_lshlrev_b64 v[6:7], 4, v[6:7]
	ds_read_b128 v[48:51], v221 offset:960
	v_mul_f64 v[28:29], v[10:11], s[2:3]
	v_add_co_u32 v24, s0, s6, v4
	v_add_co_ci_u32_e64 v25, s0, s7, v5, s0
	v_add_co_u32 v4, s0, v24, v6
	v_add_co_ci_u32_e64 v5, s0, v25, v7, s0
	s_mul_i32 s0, s9, 15
	s_add_i32 s1, s1, s0
	s_mul_i32 s0, s8, 15
	global_store_dwordx4 v[4:5], v[44:47], off
	v_mul_f64 v[26:27], v[2:3], s[2:3]
	s_lshl_b64 s[4:5], s[0:1], 4
	v_add_co_u32 v4, s0, v4, s4
	v_add_co_ci_u32_e64 v5, s0, s5, v5, s0
	s_waitcnt vmcnt(0) lgkmcnt(2)
	v_mul_f64 v[0:1], v[19:20], v[34:35]
	v_mul_f64 v[8:9], v[19:20], v[32:33]
	v_fma_f64 v[0:1], v[17:18], v[32:33], v[0:1]
	v_fma_f64 v[2:3], v[17:18], v[34:35], -v[8:9]
	s_clause 0x3
	buffer_load_dword v14, off, s[40:43], 0 offset:48
	buffer_load_dword v15, off, s[40:43], 0 offset:52
	;; [unrolled: 1-line block ×4, first 2 shown]
	ds_read_b128 v[30:33], v221 offset:1200
	s_clause 0x3
	buffer_load_dword v20, off, s[40:43], 0 offset:64
	buffer_load_dword v21, off, s[40:43], 0 offset:68
	;; [unrolled: 1-line block ×4, first 2 shown]
	ds_read_b128 v[44:47], v221 offset:1440
	ds_read_b128 v[56:59], v221 offset:1680
	;; [unrolled: 1-line block ×5, first 2 shown]
	v_mul_f64 v[68:69], v[0:1], s[2:3]
	v_mul_f64 v[70:71], v[2:3], s[2:3]
	s_waitcnt vmcnt(4) lgkmcnt(7)
	v_mul_f64 v[6:7], v[16:17], v[54:55]
	v_mul_f64 v[8:9], v[16:17], v[52:53]
	s_waitcnt vmcnt(0) lgkmcnt(6)
	v_mul_f64 v[10:11], v[22:23], v[50:51]
	v_mul_f64 v[12:13], v[22:23], v[48:49]
	v_fma_f64 v[0:1], v[14:15], v[52:53], v[6:7]
	v_fma_f64 v[2:3], v[14:15], v[54:55], -v[8:9]
	s_clause 0x7
	buffer_load_dword v52, off, s[40:43], 0 offset:80
	buffer_load_dword v53, off, s[40:43], 0 offset:84
	;; [unrolled: 1-line block ×8, first 2 shown]
	v_fma_f64 v[10:11], v[20:21], v[48:49], v[10:11]
	v_fma_f64 v[12:13], v[20:21], v[50:51], -v[12:13]
	v_add_co_u32 v14, s0, v4, s4
	v_add_co_ci_u32_e64 v15, s0, s5, v5, s0
	v_add_co_u32 v50, s0, v14, s4
	v_add_co_ci_u32_e64 v51, s0, s5, v15, s0
	v_mul_f64 v[0:1], v[0:1], s[2:3]
	v_mul_f64 v[2:3], v[2:3], s[2:3]
	s_waitcnt vmcnt(4) lgkmcnt(5)
	v_mul_f64 v[6:7], v[54:55], v[32:33]
	s_waitcnt vmcnt(0) lgkmcnt(4)
	v_mul_f64 v[16:17], v[78:79], v[46:47]
	v_mul_f64 v[18:19], v[78:79], v[44:45]
	s_clause 0x3
	buffer_load_dword v78, off, s[40:43], 0 offset:116
	buffer_load_dword v79, off, s[40:43], 0 offset:120
	;; [unrolled: 1-line block ×4, first 2 shown]
	v_mul_f64 v[8:9], v[54:55], v[30:31]
	s_waitcnt vmcnt(0) lgkmcnt(3)
	v_mul_f64 v[20:21], v[80:81], v[58:59]
	v_mul_f64 v[22:23], v[80:81], v[56:57]
	s_clause 0x3
	buffer_load_dword v80, off, s[40:43], 0 offset:132
	buffer_load_dword v81, off, s[40:43], 0 offset:136
	buffer_load_dword v82, off, s[40:43], 0 offset:140
	buffer_load_dword v83, off, s[40:43], 0 offset:144
	s_waitcnt vmcnt(0) lgkmcnt(2)
	v_mul_f64 v[34:35], v[82:83], v[62:63]
	v_mul_f64 v[36:37], v[82:83], v[60:61]
	s_clause 0x3
	buffer_load_dword v82, off, s[40:43], 0 offset:196
	buffer_load_dword v83, off, s[40:43], 0 offset:200
	buffer_load_dword v84, off, s[40:43], 0 offset:204
	buffer_load_dword v85, off, s[40:43], 0 offset:208
	s_waitcnt vmcnt(0) lgkmcnt(1)
	v_mul_f64 v[38:39], v[84:85], v[66:67]
	v_mul_f64 v[40:41], v[84:85], v[64:65]
	s_clause 0x3
	buffer_load_dword v84, off, s[40:43], 0 offset:212
	buffer_load_dword v85, off, s[40:43], 0 offset:216
	buffer_load_dword v86, off, s[40:43], 0 offset:220
	buffer_load_dword v87, off, s[40:43], 0 offset:224
	global_store_dwordx4 v[4:5], v[26:29], off
	global_store_dwordx4 v[14:15], v[68:71], off
	v_fma_f64 v[26:27], v[52:53], v[30:31], v[6:7]
	v_fma_f64 v[28:29], v[52:53], v[32:33], -v[8:9]
	v_fma_f64 v[14:15], v[76:77], v[44:45], v[16:17]
	v_fma_f64 v[16:17], v[76:77], v[46:47], -v[18:19]
	;; [unrolled: 2-line block ×4, first 2 shown]
	v_mul_f64 v[4:5], v[10:11], s[2:3]
	v_mul_f64 v[6:7], v[12:13], s[2:3]
	global_store_dwordx4 v[50:51], v[0:3], off
	v_fma_f64 v[32:33], v[82:83], v[64:65], v[38:39]
	v_fma_f64 v[34:35], v[82:83], v[66:67], -v[40:41]
	v_add_co_u32 v40, s0, v50, s4
	v_add_co_ci_u32_e64 v41, s0, s5, v51, s0
	v_mul_f64 v[8:9], v[26:27], s[2:3]
	v_mul_f64 v[10:11], v[28:29], s[2:3]
	v_mul_f64 v[12:13], v[14:15], s[2:3]
	v_mul_f64 v[14:15], v[16:17], s[2:3]
	v_mul_f64 v[16:17], v[18:19], s[2:3]
	v_mul_f64 v[18:19], v[20:21], s[2:3]
	v_mul_f64 v[20:21], v[22:23], s[2:3]
	v_mul_f64 v[22:23], v[30:31], s[2:3]
	global_store_dwordx4 v[40:41], v[4:7], off
	v_mul_f64 v[26:27], v[32:33], s[2:3]
	v_mul_f64 v[28:29], v[34:35], s[2:3]
	s_waitcnt vmcnt(0) lgkmcnt(0)
	v_mul_f64 v[42:43], v[86:87], v[74:75]
	v_mul_f64 v[48:49], v[86:87], v[72:73]
	v_fma_f64 v[36:37], v[84:85], v[72:73], v[42:43]
	v_fma_f64 v[38:39], v[84:85], v[74:75], -v[48:49]
	v_add_co_u32 v42, s0, v40, s4
	v_add_co_ci_u32_e64 v43, s0, s5, v41, s0
	v_add_co_u32 v44, s0, v42, s4
	v_add_co_ci_u32_e64 v45, s0, s5, v43, s0
	global_store_dwordx4 v[42:43], v[8:11], off
	v_add_co_u32 v34, s0, v44, s4
	v_add_co_ci_u32_e64 v35, s0, s5, v45, s0
	v_add_co_u32 v2, s0, v34, s4
	v_add_co_ci_u32_e64 v3, s0, s5, v35, s0
	v_mul_f64 v[30:31], v[36:37], s[2:3]
	v_mul_f64 v[32:33], v[38:39], s[2:3]
	v_add_co_u32 v4, s0, v2, s4
	v_add_co_ci_u32_e64 v5, s0, s5, v3, s0
	v_add_co_u32 v0, s0, v4, s4
	v_add_co_ci_u32_e64 v1, s0, s5, v5, s0
	global_store_dwordx4 v[44:45], v[12:15], off
	global_store_dwordx4 v[34:35], v[16:19], off
	;; [unrolled: 1-line block ×5, first 2 shown]
	s_and_b32 exec_lo, exec_lo, vcc_lo
	s_cbranch_execz .LBB0_15
; %bb.14:
	global_load_dwordx4 v[2:5], v[204:205], off offset:176
	ds_read_b128 v[6:9], v209 offset:176
	v_mad_u64_u32 v[12:13], null, 0xfffff750, s8, v[0:1]
	s_mul_i32 s0, s9, 0xfffff750
	s_sub_i32 s0, s0, s8
	v_add_nc_u32_e32 v13, s0, v13
	s_mul_i32 s0, s9, 0x1e0
	s_waitcnt vmcnt(0) lgkmcnt(0)
	v_mul_f64 v[10:11], v[8:9], v[4:5]
	v_mul_f64 v[4:5], v[6:7], v[4:5]
	v_fma_f64 v[6:7], v[6:7], v[2:3], v[10:11]
	v_fma_f64 v[4:5], v[2:3], v[8:9], -v[4:5]
	v_mul_f64 v[2:3], v[6:7], s[2:3]
	v_mul_f64 v[4:5], v[4:5], s[2:3]
	global_store_dwordx4 v[12:13], v[2:5], off
	global_load_dwordx4 v[0:3], v[204:205], off offset:416
	ds_read_b128 v[4:7], v221 offset:416
	ds_read_b128 v[8:11], v221 offset:656
	s_waitcnt vmcnt(0) lgkmcnt(1)
	v_mul_f64 v[14:15], v[6:7], v[2:3]
	v_mul_f64 v[2:3], v[4:5], v[2:3]
	v_fma_f64 v[4:5], v[4:5], v[0:1], v[14:15]
	v_fma_f64 v[2:3], v[0:1], v[6:7], -v[2:3]
	v_mul_f64 v[0:1], v[4:5], s[2:3]
	v_mul_f64 v[2:3], v[2:3], s[2:3]
	v_add_co_u32 v4, vcc_lo, v12, s4
	v_add_co_ci_u32_e32 v5, vcc_lo, s5, v13, vcc_lo
	v_add_co_u32 v12, vcc_lo, v4, s4
	v_add_co_ci_u32_e32 v13, vcc_lo, s5, v5, vcc_lo
	global_store_dwordx4 v[4:5], v[0:3], off
	global_load_dwordx4 v[0:3], v[204:205], off offset:656
	s_waitcnt vmcnt(0) lgkmcnt(0)
	v_mul_f64 v[6:7], v[10:11], v[2:3]
	v_mul_f64 v[2:3], v[8:9], v[2:3]
	v_fma_f64 v[6:7], v[8:9], v[0:1], v[6:7]
	v_fma_f64 v[2:3], v[0:1], v[10:11], -v[2:3]
	v_mul_f64 v[0:1], v[6:7], s[2:3]
	v_mul_f64 v[2:3], v[2:3], s[2:3]
	global_store_dwordx4 v[12:13], v[0:3], off
	global_load_dwordx4 v[0:3], v[204:205], off offset:896
	ds_read_b128 v[4:7], v221 offset:896
	ds_read_b128 v[8:11], v221 offset:1136
	v_mad_u64_u32 v[12:13], null, 0x1e0, s8, v[12:13]
	v_add_nc_u32_e32 v13, s0, v13
	s_waitcnt vmcnt(0) lgkmcnt(1)
	v_mul_f64 v[14:15], v[6:7], v[2:3]
	v_mul_f64 v[2:3], v[4:5], v[2:3]
	v_fma_f64 v[4:5], v[4:5], v[0:1], v[14:15]
	v_fma_f64 v[2:3], v[0:1], v[6:7], -v[2:3]
	buffer_load_dword v1, off, s[40:43], 0 offset:112 ; 4-byte Folded Reload
	v_mul_f64 v[2:3], v[2:3], s[2:3]
	s_waitcnt vmcnt(0)
	v_mad_u64_u32 v[6:7], null, s8, v1, 0
	v_mov_b32_e32 v0, v7
	v_mad_u64_u32 v[14:15], null, s9, v1, v[0:1]
	v_mul_f64 v[0:1], v[4:5], s[2:3]
	v_mov_b32_e32 v7, v14
	v_lshlrev_b64 v[4:5], 4, v[6:7]
	v_add_co_u32 v4, vcc_lo, v24, v4
	v_add_co_ci_u32_e32 v5, vcc_lo, v25, v5, vcc_lo
	global_store_dwordx4 v[4:5], v[0:3], off
	global_load_dwordx4 v[0:3], v[204:205], off offset:1136
	s_waitcnt vmcnt(0) lgkmcnt(0)
	v_mul_f64 v[4:5], v[10:11], v[2:3]
	v_mul_f64 v[2:3], v[8:9], v[2:3]
	v_fma_f64 v[4:5], v[8:9], v[0:1], v[4:5]
	v_fma_f64 v[2:3], v[0:1], v[10:11], -v[2:3]
	v_mul_f64 v[0:1], v[4:5], s[2:3]
	v_mul_f64 v[2:3], v[2:3], s[2:3]
	global_store_dwordx4 v[12:13], v[0:3], off
	global_load_dwordx4 v[0:3], v[204:205], off offset:1376
	ds_read_b128 v[4:7], v221 offset:1376
	ds_read_b128 v[8:11], v221 offset:1616
	s_waitcnt vmcnt(0) lgkmcnt(1)
	v_mul_f64 v[14:15], v[6:7], v[2:3]
	v_mul_f64 v[2:3], v[4:5], v[2:3]
	v_fma_f64 v[4:5], v[4:5], v[0:1], v[14:15]
	v_fma_f64 v[2:3], v[0:1], v[6:7], -v[2:3]
	v_mul_f64 v[0:1], v[4:5], s[2:3]
	v_mul_f64 v[2:3], v[2:3], s[2:3]
	v_add_co_u32 v4, vcc_lo, v12, s4
	v_add_co_ci_u32_e32 v5, vcc_lo, s5, v13, vcc_lo
	v_add_co_u32 v12, vcc_lo, v4, s4
	v_add_co_ci_u32_e32 v13, vcc_lo, s5, v5, vcc_lo
	global_store_dwordx4 v[4:5], v[0:3], off
	global_load_dwordx4 v[0:3], v[204:205], off offset:1616
	s_waitcnt vmcnt(0) lgkmcnt(0)
	v_mul_f64 v[6:7], v[10:11], v[2:3]
	v_mul_f64 v[2:3], v[8:9], v[2:3]
	v_fma_f64 v[6:7], v[8:9], v[0:1], v[6:7]
	v_fma_f64 v[2:3], v[0:1], v[10:11], -v[2:3]
	v_mul_f64 v[0:1], v[6:7], s[2:3]
	v_mul_f64 v[2:3], v[2:3], s[2:3]
	global_store_dwordx4 v[12:13], v[0:3], off
	global_load_dwordx4 v[0:3], v[204:205], off offset:1856
	ds_read_b128 v[4:7], v221 offset:1856
	ds_read_b128 v[8:11], v221 offset:2096
	v_mad_u64_u32 v[12:13], null, 0x1e0, s8, v[12:13]
	v_add_nc_u32_e32 v13, s0, v13
	s_waitcnt vmcnt(0) lgkmcnt(1)
	v_mul_f64 v[14:15], v[6:7], v[2:3]
	v_mul_f64 v[2:3], v[4:5], v[2:3]
	v_fma_f64 v[4:5], v[4:5], v[0:1], v[14:15]
	v_fma_f64 v[2:3], v[0:1], v[6:7], -v[2:3]
	buffer_load_dword v1, off, s[40:43], 0 offset:228 ; 4-byte Folded Reload
	v_mul_f64 v[2:3], v[2:3], s[2:3]
	s_waitcnt vmcnt(0)
	v_mad_u64_u32 v[6:7], null, s8, v1, 0
	v_mov_b32_e32 v0, v7
	v_mad_u64_u32 v[14:15], null, s9, v1, v[0:1]
	v_mul_f64 v[0:1], v[4:5], s[2:3]
	v_mov_b32_e32 v7, v14
	v_lshlrev_b64 v[4:5], 4, v[6:7]
	v_add_co_u32 v4, vcc_lo, v24, v4
	v_add_co_ci_u32_e32 v5, vcc_lo, v25, v5, vcc_lo
	global_store_dwordx4 v[4:5], v[0:3], off
	s_clause 0x1
	buffer_load_dword v16, off, s[40:43], 0 offset:4
	buffer_load_dword v17, off, s[40:43], 0 offset:8
	s_waitcnt vmcnt(0)
	global_load_dwordx4 v[0:3], v[16:17], off offset:48
	s_waitcnt vmcnt(0) lgkmcnt(0)
	v_mul_f64 v[4:5], v[10:11], v[2:3]
	v_mul_f64 v[2:3], v[8:9], v[2:3]
	v_fma_f64 v[4:5], v[8:9], v[0:1], v[4:5]
	v_fma_f64 v[2:3], v[0:1], v[10:11], -v[2:3]
	v_mul_f64 v[0:1], v[4:5], s[2:3]
	v_mul_f64 v[2:3], v[2:3], s[2:3]
	global_store_dwordx4 v[12:13], v[0:3], off
	global_load_dwordx4 v[0:3], v[16:17], off offset:288
	ds_read_b128 v[4:7], v221 offset:2336
	ds_read_b128 v[8:11], v221 offset:2576
	s_waitcnt vmcnt(0) lgkmcnt(1)
	v_mul_f64 v[14:15], v[6:7], v[2:3]
	v_mul_f64 v[2:3], v[4:5], v[2:3]
	v_fma_f64 v[4:5], v[4:5], v[0:1], v[14:15]
	v_fma_f64 v[2:3], v[0:1], v[6:7], -v[2:3]
	v_mul_f64 v[0:1], v[4:5], s[2:3]
	v_mul_f64 v[2:3], v[2:3], s[2:3]
	v_add_co_u32 v4, vcc_lo, v12, s4
	v_add_co_ci_u32_e32 v5, vcc_lo, s5, v13, vcc_lo
	global_store_dwordx4 v[4:5], v[0:3], off
	global_load_dwordx4 v[0:3], v[16:17], off offset:528
	v_add_co_u32 v4, vcc_lo, v4, s4
	v_add_co_ci_u32_e32 v5, vcc_lo, s5, v5, vcc_lo
	s_waitcnt vmcnt(0) lgkmcnt(0)
	v_mul_f64 v[6:7], v[10:11], v[2:3]
	v_mul_f64 v[2:3], v[8:9], v[2:3]
	v_fma_f64 v[6:7], v[8:9], v[0:1], v[6:7]
	v_fma_f64 v[2:3], v[0:1], v[10:11], -v[2:3]
	v_mul_f64 v[0:1], v[6:7], s[2:3]
	v_mul_f64 v[2:3], v[2:3], s[2:3]
	global_store_dwordx4 v[4:5], v[0:3], off
.LBB0_15:
	s_endpgm
	.section	.rodata,"a",@progbits
	.p2align	6, 0x0
	.amdhsa_kernel bluestein_single_fwd_len165_dim1_dp_op_CI_CI
		.amdhsa_group_segment_fixed_size 13200
		.amdhsa_private_segment_fixed_size 236
		.amdhsa_kernarg_size 104
		.amdhsa_user_sgpr_count 6
		.amdhsa_user_sgpr_private_segment_buffer 1
		.amdhsa_user_sgpr_dispatch_ptr 0
		.amdhsa_user_sgpr_queue_ptr 0
		.amdhsa_user_sgpr_kernarg_segment_ptr 1
		.amdhsa_user_sgpr_dispatch_id 0
		.amdhsa_user_sgpr_flat_scratch_init 0
		.amdhsa_user_sgpr_private_segment_size 0
		.amdhsa_wavefront_size32 1
		.amdhsa_uses_dynamic_stack 0
		.amdhsa_system_sgpr_private_segment_wavefront_offset 1
		.amdhsa_system_sgpr_workgroup_id_x 1
		.amdhsa_system_sgpr_workgroup_id_y 0
		.amdhsa_system_sgpr_workgroup_id_z 0
		.amdhsa_system_sgpr_workgroup_info 0
		.amdhsa_system_vgpr_workitem_id 0
		.amdhsa_next_free_vgpr 256
		.amdhsa_next_free_sgpr 44
		.amdhsa_reserve_vcc 1
		.amdhsa_reserve_flat_scratch 0
		.amdhsa_float_round_mode_32 0
		.amdhsa_float_round_mode_16_64 0
		.amdhsa_float_denorm_mode_32 3
		.amdhsa_float_denorm_mode_16_64 3
		.amdhsa_dx10_clamp 1
		.amdhsa_ieee_mode 1
		.amdhsa_fp16_overflow 0
		.amdhsa_workgroup_processor_mode 1
		.amdhsa_memory_ordered 1
		.amdhsa_forward_progress 0
		.amdhsa_shared_vgpr_count 0
		.amdhsa_exception_fp_ieee_invalid_op 0
		.amdhsa_exception_fp_denorm_src 0
		.amdhsa_exception_fp_ieee_div_zero 0
		.amdhsa_exception_fp_ieee_overflow 0
		.amdhsa_exception_fp_ieee_underflow 0
		.amdhsa_exception_fp_ieee_inexact 0
		.amdhsa_exception_int_div_zero 0
	.end_amdhsa_kernel
	.text
.Lfunc_end0:
	.size	bluestein_single_fwd_len165_dim1_dp_op_CI_CI, .Lfunc_end0-bluestein_single_fwd_len165_dim1_dp_op_CI_CI
                                        ; -- End function
	.section	.AMDGPU.csdata,"",@progbits
; Kernel info:
; codeLenInByte = 24732
; NumSgprs: 46
; NumVgprs: 256
; ScratchSize: 236
; MemoryBound: 0
; FloatMode: 240
; IeeeMode: 1
; LDSByteSize: 13200 bytes/workgroup (compile time only)
; SGPRBlocks: 5
; VGPRBlocks: 31
; NumSGPRsForWavesPerEU: 46
; NumVGPRsForWavesPerEU: 256
; Occupancy: 4
; WaveLimiterHint : 1
; COMPUTE_PGM_RSRC2:SCRATCH_EN: 1
; COMPUTE_PGM_RSRC2:USER_SGPR: 6
; COMPUTE_PGM_RSRC2:TRAP_HANDLER: 0
; COMPUTE_PGM_RSRC2:TGID_X_EN: 1
; COMPUTE_PGM_RSRC2:TGID_Y_EN: 0
; COMPUTE_PGM_RSRC2:TGID_Z_EN: 0
; COMPUTE_PGM_RSRC2:TIDIG_COMP_CNT: 0
	.text
	.p2alignl 6, 3214868480
	.fill 48, 4, 3214868480
	.type	__hip_cuid_752d051225c071a3,@object ; @__hip_cuid_752d051225c071a3
	.section	.bss,"aw",@nobits
	.globl	__hip_cuid_752d051225c071a3
__hip_cuid_752d051225c071a3:
	.byte	0                               ; 0x0
	.size	__hip_cuid_752d051225c071a3, 1

	.ident	"AMD clang version 19.0.0git (https://github.com/RadeonOpenCompute/llvm-project roc-6.4.0 25133 c7fe45cf4b819c5991fe208aaa96edf142730f1d)"
	.section	".note.GNU-stack","",@progbits
	.addrsig
	.addrsig_sym __hip_cuid_752d051225c071a3
	.amdgpu_metadata
---
amdhsa.kernels:
  - .args:
      - .actual_access:  read_only
        .address_space:  global
        .offset:         0
        .size:           8
        .value_kind:     global_buffer
      - .actual_access:  read_only
        .address_space:  global
        .offset:         8
        .size:           8
        .value_kind:     global_buffer
      - .actual_access:  read_only
        .address_space:  global
        .offset:         16
        .size:           8
        .value_kind:     global_buffer
      - .actual_access:  read_only
        .address_space:  global
        .offset:         24
        .size:           8
        .value_kind:     global_buffer
      - .actual_access:  read_only
        .address_space:  global
        .offset:         32
        .size:           8
        .value_kind:     global_buffer
      - .offset:         40
        .size:           8
        .value_kind:     by_value
      - .address_space:  global
        .offset:         48
        .size:           8
        .value_kind:     global_buffer
      - .address_space:  global
        .offset:         56
        .size:           8
        .value_kind:     global_buffer
      - .address_space:  global
        .offset:         64
        .size:           8
        .value_kind:     global_buffer
      - .address_space:  global
        .offset:         72
        .size:           8
        .value_kind:     global_buffer
      - .offset:         80
        .size:           4
        .value_kind:     by_value
      - .address_space:  global
        .offset:         88
        .size:           8
        .value_kind:     global_buffer
      - .address_space:  global
        .offset:         96
        .size:           8
        .value_kind:     global_buffer
    .group_segment_fixed_size: 13200
    .kernarg_segment_align: 8
    .kernarg_segment_size: 104
    .language:       OpenCL C
    .language_version:
      - 2
      - 0
    .max_flat_workgroup_size: 55
    .name:           bluestein_single_fwd_len165_dim1_dp_op_CI_CI
    .private_segment_fixed_size: 236
    .sgpr_count:     46
    .sgpr_spill_count: 0
    .symbol:         bluestein_single_fwd_len165_dim1_dp_op_CI_CI.kd
    .uniform_work_group_size: 1
    .uses_dynamic_stack: false
    .vgpr_count:     256
    .vgpr_spill_count: 66
    .wavefront_size: 32
    .workgroup_processor_mode: 1
amdhsa.target:   amdgcn-amd-amdhsa--gfx1030
amdhsa.version:
  - 1
  - 2
...

	.end_amdgpu_metadata
